;; amdgpu-corpus repo=ROCm/rocFFT kind=compiled arch=gfx1201 opt=O3
	.text
	.amdgcn_target "amdgcn-amd-amdhsa--gfx1201"
	.amdhsa_code_object_version 6
	.protected	bluestein_single_fwd_len208_dim1_sp_op_CI_CI ; -- Begin function bluestein_single_fwd_len208_dim1_sp_op_CI_CI
	.globl	bluestein_single_fwd_len208_dim1_sp_op_CI_CI
	.p2align	8
	.type	bluestein_single_fwd_len208_dim1_sp_op_CI_CI,@function
bluestein_single_fwd_len208_dim1_sp_op_CI_CI: ; @bluestein_single_fwd_len208_dim1_sp_op_CI_CI
; %bb.0:
	s_load_b128 s[16:19], s[0:1], 0x28
	v_lshrrev_b32_e32 v1, 4, v0
	v_mov_b32_e32 v53, 0
	s_mov_b32 s2, exec_lo
	s_delay_alu instid0(VALU_DEP_2) | instskip(SKIP_1) | instid1(VALU_DEP_1)
	v_lshl_or_b32 v52, ttmp9, 2, v1
	s_wait_kmcnt 0x0
	v_cmpx_gt_u64_e64 s[16:17], v[52:53]
	s_cbranch_execz .LBB0_10
; %bb.1:
	s_clause 0x1
	s_load_b128 s[4:7], s[0:1], 0x18
	s_load_b128 s[8:11], s[0:1], 0x0
	s_wait_kmcnt 0x0
	s_load_b128 s[12:15], s[4:5], 0x0
	s_wait_kmcnt 0x0
	v_mad_co_u64_u32 v[2:3], null, s14, v52, 0
	v_and_b32_e32 v91, 15, v0
	s_lshl_b64 s[2:3], s[12:13], 7
	s_delay_alu instid0(VALU_DEP_2) | instskip(NEXT) | instid1(VALU_DEP_2)
	v_mov_b32_e32 v0, v3
	v_mad_co_u64_u32 v[4:5], null, s12, v91, 0
	v_lshlrev_b32_e32 v94, 3, v91
	s_clause 0x3
	global_load_b64 v[57:58], v94, s[8:9]
	global_load_b64 v[63:64], v94, s[8:9] offset:128
	global_load_b64 v[53:54], v94, s[8:9] offset:256
	;; [unrolled: 1-line block ×3, first 2 shown]
	v_mov_b32_e32 v3, v5
	v_mad_co_u64_u32 v[5:6], null, s15, v52, v[0:1]
	s_clause 0x6
	global_load_b64 v[59:60], v94, s[8:9] offset:512
	global_load_b64 v[61:62], v94, s[8:9] offset:640
	;; [unrolled: 1-line block ×7, first 2 shown]
	v_mad_co_u64_u32 v[6:7], null, s13, v91, v[3:4]
	v_mov_b32_e32 v3, v5
	s_delay_alu instid0(VALU_DEP_2) | instskip(NEXT) | instid1(VALU_DEP_2)
	v_mov_b32_e32 v5, v6
	v_lshlrev_b64_e32 v[2:3], 3, v[2:3]
	s_delay_alu instid0(VALU_DEP_2) | instskip(NEXT) | instid1(VALU_DEP_2)
	v_lshlrev_b64_e32 v[4:5], 3, v[4:5]
	v_add_co_u32 v0, vcc_lo, s18, v2
	s_delay_alu instid0(VALU_DEP_3) | instskip(NEXT) | instid1(VALU_DEP_2)
	v_add_co_ci_u32_e32 v3, vcc_lo, s19, v3, vcc_lo
	v_add_co_u32 v2, vcc_lo, v0, v4
	s_wait_alu 0xfffd
	s_delay_alu instid0(VALU_DEP_2) | instskip(NEXT) | instid1(VALU_DEP_2)
	v_add_co_ci_u32_e32 v3, vcc_lo, v3, v5, vcc_lo
	v_add_co_u32 v4, vcc_lo, v2, s2
	s_wait_alu 0xfffd
	s_delay_alu instid0(VALU_DEP_2) | instskip(SKIP_4) | instid1(VALU_DEP_2)
	v_add_co_ci_u32_e32 v5, vcc_lo, s3, v3, vcc_lo
	global_load_b64 v[2:3], v[2:3], off
	v_add_co_u32 v6, vcc_lo, v4, s2
	s_wait_alu 0xfffd
	v_add_co_ci_u32_e32 v7, vcc_lo, s3, v5, vcc_lo
	v_add_co_u32 v8, vcc_lo, v6, s2
	s_wait_alu 0xfffd
	s_delay_alu instid0(VALU_DEP_2)
	v_add_co_ci_u32_e32 v9, vcc_lo, s3, v7, vcc_lo
	s_clause 0x1
	global_load_b64 v[4:5], v[4:5], off
	global_load_b64 v[6:7], v[6:7], off
	v_add_co_u32 v10, vcc_lo, v8, s2
	s_wait_alu 0xfffd
	v_add_co_ci_u32_e32 v11, vcc_lo, s3, v9, vcc_lo
	s_delay_alu instid0(VALU_DEP_2) | instskip(SKIP_1) | instid1(VALU_DEP_2)
	v_add_co_u32 v12, vcc_lo, v10, s2
	s_wait_alu 0xfffd
	v_add_co_ci_u32_e32 v13, vcc_lo, s3, v11, vcc_lo
	s_clause 0x1
	global_load_b64 v[8:9], v[8:9], off
	global_load_b64 v[10:11], v[10:11], off
	v_add_co_u32 v14, vcc_lo, v12, s2
	s_wait_alu 0xfffd
	v_add_co_ci_u32_e32 v15, vcc_lo, s3, v13, vcc_lo
	global_load_b64 v[12:13], v[12:13], off
	v_add_co_u32 v16, vcc_lo, v14, s2
	s_wait_alu 0xfffd
	v_add_co_ci_u32_e32 v17, vcc_lo, s3, v15, vcc_lo
	;; [unrolled: 4-line block ×7, first 2 shown]
	global_load_b64 v[77:78], v94, s[8:9] offset:1408
	global_load_b64 v[24:25], v[24:25], off
	global_load_b64 v[75:76], v94, s[8:9] offset:1536
	global_load_b64 v[28:29], v[18:19], off
	v_mul_u32_u24_e32 v18, 0xd0, v1
	s_load_b128 s[4:7], s[6:7], 0x0
	s_load_b64 s[2:3], s[0:1], 0x38
	v_add_co_u32 v34, s0, s8, v94
	s_delay_alu instid0(VALU_DEP_2)
	v_or_b32_e32 v1, v18, v91
	v_lshl_or_b32 v92, v18, 3, v94
	s_wait_alu 0xf1ff
	v_add_co_ci_u32_e64 v35, null, s9, 0, s0
	v_cmp_gt_u32_e32 vcc_lo, 13, v91
	s_wait_loadcnt 0xe
	v_dual_mul_f32 v0, v3, v58 :: v_dual_lshlrev_b32 v93, 3, v1
	v_mul_f32_e32 v1, v2, v58
	s_delay_alu instid0(VALU_DEP_2) | instskip(SKIP_4) | instid1(VALU_DEP_2)
	v_fmac_f32_e32 v0, v2, v57
	s_wait_loadcnt 0xd
	v_mul_f32_e32 v2, v5, v64
	s_wait_loadcnt 0xc
	v_dual_mul_f32 v19, v4, v64 :: v_dual_mul_f32 v30, v7, v54
	v_dual_mul_f32 v31, v6, v54 :: v_dual_fmac_f32 v2, v4, v63
	v_fma_f32 v1, v3, v57, -v1
	s_delay_alu instid0(VALU_DEP_3) | instskip(NEXT) | instid1(VALU_DEP_4)
	v_fma_f32 v3, v5, v63, -v19
	v_fmac_f32_e32 v30, v6, v53
	ds_store_b64 v93, v[0:1]
	s_wait_loadcnt 0xb
	v_mul_f32_e32 v1, v8, v56
	v_mul_f32_e32 v0, v9, v56
	v_fma_f32 v31, v7, v53, -v31
	s_wait_loadcnt 0x9
	v_mul_f32_e32 v4, v13, v62
	v_fma_f32 v1, v9, v55, -v1
	v_fmac_f32_e32 v0, v8, v55
	ds_store_2addr_b64 v92, v[2:3], v[30:31] offset0:16 offset1:32
	v_dual_mul_f32 v2, v11, v60 :: v_dual_mul_f32 v5, v12, v62
	s_wait_loadcnt 0x8
	v_dual_mul_f32 v3, v10, v60 :: v_dual_mul_f32 v6, v15, v66
	v_mul_f32_e32 v7, v14, v66
	s_delay_alu instid0(VALU_DEP_3)
	v_fmac_f32_e32 v2, v10, v59
	s_wait_loadcnt 0x7
	v_mul_f32_e32 v8, v17, v68
	v_mul_f32_e32 v9, v16, v68
	v_fmac_f32_e32 v4, v12, v61
	v_fma_f32 v3, v11, v59, -v3
	v_fma_f32 v5, v13, v61, -v5
	s_wait_loadcnt 0x6
	v_mul_f32_e32 v11, v22, v70
	v_fma_f32 v7, v15, v65, -v7
	v_fmac_f32_e32 v8, v16, v67
	v_fma_f32 v9, v17, v67, -v9
	s_wait_loadcnt 0x5
	v_mul_f32_e32 v12, v21, v72
	v_mul_f32_e32 v13, v20, v72
	v_fma_f32 v11, v23, v69, -v11
	s_wait_loadcnt 0x4
	s_delay_alu instid0(VALU_DEP_3) | instskip(NEXT) | instid1(VALU_DEP_3)
	v_dual_mul_f32 v15, v26, v74 :: v_dual_fmac_f32 v12, v20, v71
	v_fma_f32 v13, v21, v71, -v13
	s_wait_loadcnt 0x2
	v_mul_f32_e32 v16, v25, v78
	v_mul_f32_e32 v17, v24, v78
	s_wait_loadcnt 0x0
	v_dual_mul_f32 v19, v29, v76 :: v_dual_mul_f32 v10, v23, v70
	v_fmac_f32_e32 v6, v14, v65
	v_mul_f32_e32 v14, v27, v74
	v_mul_f32_e32 v20, v28, v76
	s_delay_alu instid0(VALU_DEP_4) | instskip(SKIP_1) | instid1(VALU_DEP_4)
	v_dual_fmac_f32 v19, v28, v75 :: v_dual_fmac_f32 v10, v22, v69
	v_fma_f32 v15, v27, v73, -v15
	v_fmac_f32_e32 v14, v26, v73
	v_fmac_f32_e32 v16, v24, v77
	v_fma_f32 v17, v25, v77, -v17
	v_fma_f32 v20, v29, v75, -v20
	ds_store_2addr_b64 v92, v[0:1], v[2:3] offset0:48 offset1:64
	ds_store_2addr_b64 v92, v[4:5], v[6:7] offset0:80 offset1:96
	;; [unrolled: 1-line block ×5, first 2 shown]
	global_wb scope:SCOPE_SE
	s_wait_dscnt 0x0
	s_wait_kmcnt 0x0
	s_barrier_signal -1
	s_barrier_wait -1
	global_inv scope:SCOPE_SE
	ds_load_b64 v[16:17], v93
	ds_load_2addr_b64 v[12:15], v92 offset0:16 offset1:32
	ds_load_2addr_b64 v[0:3], v92 offset0:176 offset1:192
	;; [unrolled: 1-line block ×6, first 2 shown]
	global_wb scope:SCOPE_SE
	s_wait_dscnt 0x0
	s_barrier_signal -1
	s_barrier_wait -1
	global_inv scope:SCOPE_SE
	v_dual_add_f32 v28, v17, v13 :: v_dual_add_f32 v27, v16, v12
	v_add_f32_e32 v29, v2, v12
	v_dual_sub_f32 v39, v8, v6 :: v_dual_add_f32 v30, v3, v13
	v_add_f32_e32 v41, v4, v10
	v_dual_sub_f32 v12, v12, v2 :: v_dual_sub_f32 v47, v19, v25
	v_sub_f32_e32 v13, v13, v3
	v_dual_add_f32 v32, v1, v15 :: v_dual_add_f32 v79, v23, v21
	v_dual_sub_f32 v36, v15, v1 :: v_dual_sub_f32 v83, v22, v24
	v_dual_add_f32 v38, v7, v9 :: v_dual_add_f32 v15, v28, v15
	v_add_f32_e32 v31, v0, v14
	v_dual_sub_f32 v33, v14, v0 :: v_dual_sub_f32 v40, v9, v7
	v_dual_add_f32 v42, v5, v11 :: v_dual_mul_f32 v49, 0xbf52af12, v13
	v_dual_sub_f32 v43, v10, v4 :: v_dual_sub_f32 v44, v11, v5
	v_mul_f32_e32 v81, 0xbf7e222b, v12
	v_dual_add_f32 v46, v26, v20 :: v_dual_mul_f32 v51, 0xbf7e222b, v13
	v_dual_sub_f32 v48, v20, v26 :: v_dual_mul_f32 v85, 0xbf6f5d39, v12
	v_dual_add_f32 v80, v24, v22 :: v_dual_mul_f32 v87, 0xbf29c268, v12
	v_dual_add_f32 v14, v27, v14 :: v_dual_mul_f32 v89, 0xbf52af12, v33
	v_dual_mul_f32 v27, 0xbeedf032, v13 :: v_dual_mul_f32 v28, 0xbeedf032, v12
	v_dual_add_f32 v9, v15, v9 :: v_dual_mul_f32 v50, 0xbf52af12, v12
	v_mul_f32_e32 v111, 0xbf52af12, v39
	v_dual_mul_f32 v84, 0xbf6f5d39, v13 :: v_dual_mul_f32 v117, 0xbf6f5d39, v43
	v_add_f32_e32 v37, v6, v8
	v_add_f32_e32 v45, v25, v19
	v_sub_f32_e32 v82, v21, v23
	v_mul_f32_e32 v86, 0xbf29c268, v13
	v_dual_mul_f32 v13, 0xbe750f2a, v13 :: v_dual_mul_f32 v12, 0xbe750f2a, v12
	v_mul_f32_e32 v97, 0xbe750f2a, v33
	v_dual_mul_f32 v88, 0xbf52af12, v36 :: v_dual_mul_f32 v129, 0xbf52af12, v47
	v_dual_mul_f32 v90, 0xbf6f5d39, v36 :: v_dual_mul_f32 v95, 0xbf6f5d39, v33
	v_dual_mul_f32 v96, 0xbe750f2a, v36 :: v_dual_mul_f32 v105, 0xbe750f2a, v39
	v_dual_mul_f32 v98, 0x3f29c268, v36 :: v_dual_mul_f32 v99, 0x3f29c268, v33
	v_dual_mul_f32 v100, 0x3f7e222b, v36 :: v_dual_mul_f32 v101, 0x3f7e222b, v33
	v_dual_mul_f32 v36, 0x3eedf032, v36 :: v_dual_mul_f32 v33, 0x3eedf032, v33
	v_dual_mul_f32 v104, 0xbe750f2a, v40 :: v_dual_mul_f32 v133, 0xbe750f2a, v82
	v_dual_mul_f32 v110, 0xbf52af12, v40 :: v_dual_add_f32 v9, v9, v11
	v_dual_mul_f32 v115, 0xbf7e222b, v44 :: v_dual_mul_f32 v120, 0xbf7e222b, v43
	v_dual_mul_f32 v123, 0x3f7e222b, v48 :: v_dual_mul_f32 v128, 0x3f7e222b, v47
	v_add_f32_e32 v8, v14, v8
	v_fma_f32 v14, 0x3f62ad3f, v29, -v27
	v_fmac_f32_e32 v27, 0x3f62ad3f, v29
	v_fma_f32 v137, 0x3f116cb1, v29, -v49
	v_dual_fmamk_f32 v138, v30, 0x3f116cb1, v50 :: v_dual_fmac_f32 v49, 0x3f116cb1, v29
	v_fma_f32 v139, 0x3df6dbef, v29, -v51
	v_fmac_f32_e32 v51, 0x3df6dbef, v29
	v_fma_f32 v141, 0xbeb58ec6, v29, -v84
	v_fmamk_f32 v144, v30, 0xbf3f9e67, v87
	v_fma_f32 v87, 0xbf3f9e67, v30, -v87
	v_dual_mul_f32 v102, 0xbf7e222b, v40 :: v_dual_mul_f32 v103, 0xbf7e222b, v39
	v_dual_mul_f32 v106, 0x3f6f5d39, v40 :: v_dual_mul_f32 v107, 0x3f6f5d39, v39
	;; [unrolled: 1-line block ×4, first 2 shown]
	v_mul_f32_e32 v39, 0xbf29c268, v39
	v_mul_f32_e32 v112, 0xbf6f5d39, v44
	v_dual_mul_f32 v113, 0x3f29c268, v44 :: v_dual_mul_f32 v118, 0x3f29c268, v43
	v_dual_mul_f32 v114, 0x3eedf032, v44 :: v_dual_mul_f32 v119, 0x3eedf032, v43
	;; [unrolled: 1-line block ×4, first 2 shown]
	v_mul_f32_e32 v124, 0xbf52af12, v48
	v_dual_mul_f32 v125, 0x3e750f2a, v48 :: v_dual_mul_f32 v130, 0x3e750f2a, v47
	v_dual_mul_f32 v126, 0x3eedf032, v48 :: v_dual_mul_f32 v131, 0x3eedf032, v47
	v_mul_f32_e32 v47, 0xbf6f5d39, v47
	v_dual_fmamk_f32 v15, v30, 0x3f62ad3f, v28 :: v_dual_fmamk_f32 v156, v32, 0x3f62ad3f, v33
	v_mul_f32_e32 v122, 0xbf29c268, v48
	v_dual_mul_f32 v48, 0xbf6f5d39, v48 :: v_dual_add_f32 v49, v16, v49
	v_fma_f32 v28, 0x3f62ad3f, v30, -v28
	v_fmamk_f32 v140, v30, 0x3df6dbef, v81
	v_fma_f32 v81, 0x3df6dbef, v30, -v81
	v_fmac_f32_e32 v84, 0xbeb58ec6, v29
	v_fma_f32 v143, 0xbf3f9e67, v29, -v86
	v_fmac_f32_e32 v86, 0xbf3f9e67, v29
	v_fma_f32 v145, 0xbf788fa5, v29, -v13
	v_dual_fmamk_f32 v146, v30, 0xbf788fa5, v12 :: v_dual_fmac_f32 v13, 0xbf788fa5, v29
	v_fma_f32 v29, 0x3f116cb1, v31, -v88
	v_fma_f32 v147, 0xbeb58ec6, v31, -v90
	v_dual_fmamk_f32 v148, v32, 0xbeb58ec6, v95 :: v_dual_add_f32 v87, v17, v87
	v_dual_fmac_f32 v90, 0xbeb58ec6, v31 :: v_dual_fmamk_f32 v185, v46, 0xbeb58ec6, v47
	v_fma_f32 v149, 0xbf788fa5, v31, -v96
	v_fmac_f32_e32 v96, 0xbf788fa5, v31
	v_fma_f32 v151, 0xbf3f9e67, v31, -v98
	v_fma_f32 v153, 0x3df6dbef, v31, -v100
	v_dual_fmamk_f32 v154, v32, 0x3df6dbef, v101 :: v_dual_fmamk_f32 v173, v42, 0x3df6dbef, v120
	v_fmac_f32_e32 v100, 0x3df6dbef, v31
	v_dual_fmamk_f32 v142, v30, 0xbeb58ec6, v85 :: v_dual_add_f32 v51, v16, v51
	v_fma_f32 v85, 0xbeb58ec6, v30, -v85
	v_fma_f32 v101, 0x3df6dbef, v32, -v101
	;; [unrolled: 1-line block ×3, first 2 shown]
	v_dual_fmac_f32 v104, 0xbf788fa5, v37 :: v_dual_add_f32 v9, v9, v20
	v_fma_f32 v168, 0x3df6dbef, v41, -v115
	v_dual_fmac_f32 v115, 0x3df6dbef, v41 :: v_dual_add_f32 v8, v8, v10
	v_fma_f32 v176, 0x3df6dbef, v45, -v123
	v_dual_fmac_f32 v123, 0x3df6dbef, v45 :: v_dual_add_f32 v10, v16, v14
	v_dual_fmamk_f32 v181, v46, 0x3df6dbef, v128 :: v_dual_add_f32 v14, v16, v27
	v_add_f32_e32 v27, v16, v137
	v_add_f32_e32 v137, v16, v139
	v_dual_add_f32 v139, v16, v141 :: v_dual_mul_f32 v132, 0xbe750f2a, v83
	v_dual_mul_f32 v136, 0xbf29c268, v83 :: v_dual_add_f32 v81, v17, v81
	v_fma_f32 v50, 0x3f116cb1, v30, -v50
	v_fma_f32 v12, 0xbf788fa5, v30, -v12
	v_dual_fmamk_f32 v30, v32, 0x3f116cb1, v89 :: v_dual_add_f32 v85, v17, v85
	v_fma_f32 v89, 0x3f116cb1, v32, -v89
	v_dual_fmamk_f32 v150, v32, 0xbf788fa5, v97 :: v_dual_fmamk_f32 v183, v46, 0xbf788fa5, v130
	v_fma_f32 v97, 0xbf788fa5, v32, -v97
	v_dual_fmamk_f32 v152, v32, 0xbf3f9e67, v99 :: v_dual_fmamk_f32 v171, v42, 0xbf3f9e67, v118
	v_fma_f32 v99, 0xbf3f9e67, v32, -v99
	v_fma_f32 v163, 0x3f116cb1, v37, -v110
	v_fmamk_f32 v166, v38, 0xbf3f9e67, v39
	v_fma_f32 v167, 0x3f62ad3f, v41, -v114
	v_dual_fmac_f32 v114, 0x3f62ad3f, v41 :: v_dual_add_f32 v87, v101, v87
	v_fma_f32 v170, 0x3f116cb1, v41, -v44
	v_dual_fmac_f32 v44, 0x3f116cb1, v41 :: v_dual_add_f32 v9, v9, v22
	v_fma_f32 v178, 0xbf788fa5, v45, -v125
	v_fmac_f32_e32 v125, 0xbf788fa5, v45
	v_fmac_f32_e32 v110, 0x3f116cb1, v37
	v_dual_fmamk_f32 v186, v80, 0xbf788fa5, v133 :: v_dual_add_f32 v11, v17, v15
	v_dual_add_f32 v15, v17, v28 :: v_dual_add_f32 v8, v8, v19
	v_add_f32_e32 v9, v9, v24
	v_dual_add_f32 v10, v29, v10 :: v_dual_add_f32 v19, v90, v49
	v_add_f32_e32 v29, v96, v51
	;; [unrolled: 2-line block ×3, first 2 shown]
	v_add_f32_e32 v140, v17, v142
	v_add_f32_e32 v142, v17, v144
	;; [unrolled: 1-line block ×3, first 2 shown]
	v_dual_fmac_f32 v88, 0x3f116cb1, v31 :: v_dual_fmamk_f32 v175, v42, 0x3f116cb1, v43
	v_fma_f32 v95, 0xbeb58ec6, v32, -v95
	v_fmac_f32_e32 v98, 0xbf3f9e67, v31
	v_fma_f32 v155, 0x3f62ad3f, v31, -v36
	v_fmac_f32_e32 v36, 0x3f62ad3f, v31
	v_fma_f32 v31, 0x3f62ad3f, v32, -v33
	v_fma_f32 v32, 0x3df6dbef, v37, -v102
	v_dual_fmamk_f32 v33, v38, 0x3df6dbef, v103 :: v_dual_fmac_f32 v102, 0x3df6dbef, v37
	v_fma_f32 v103, 0x3df6dbef, v38, -v103
	v_fma_f32 v159, 0xbeb58ec6, v37, -v106
	v_dual_fmamk_f32 v160, v38, 0xbeb58ec6, v107 :: v_dual_add_f32 v13, v16, v13
	v_dual_fmac_f32 v106, 0xbeb58ec6, v37 :: v_dual_add_f32 v11, v30, v11
	v_dual_fmamk_f32 v162, v38, 0x3f62ad3f, v109 :: v_dual_add_f32 v15, v89, v15
	v_fma_f32 v109, 0x3f62ad3f, v38, -v109
	v_fma_f32 v169, 0xbf788fa5, v41, -v116
	v_dual_fmac_f32 v116, 0xbf788fa5, v41 :: v_dual_add_f32 v89, v156, v144
	v_fmamk_f32 v172, v42, 0x3f62ad3f, v119
	v_add_f32_e32 v30, v97, v81
	v_dual_add_f32 v81, v99, v85 :: v_dual_fmamk_f32 v158, v38, 0xbf788fa5, v105
	v_add_f32_e32 v141, v16, v143
	v_fma_f32 v105, 0xbf788fa5, v38, -v105
	v_fma_f32 v107, 0xbeb58ec6, v38, -v107
	v_fma_f32 v161, 0x3f62ad3f, v37, -v108
	v_fmamk_f32 v164, v38, 0x3f116cb1, v111
	v_fma_f32 v111, 0x3f116cb1, v38, -v111
	v_fma_f32 v165, 0xbf3f9e67, v37, -v40
	v_fmac_f32_e32 v40, 0xbf3f9e67, v37
	v_fma_f32 v118, 0xbf3f9e67, v42, -v118
	v_fma_f32 v119, 0x3f62ad3f, v42, -v119
	;; [unrolled: 1-line block ×4, first 2 shown]
	v_dual_fmac_f32 v124, 0x3f116cb1, v45 :: v_dual_add_f32 v15, v103, v15
	v_dual_add_f32 v143, v16, v145 :: v_dual_fmamk_f32 v174, v42, 0xbf788fa5, v121
	v_add_f32_e32 v13, v36, v13
	v_fma_f32 v121, 0xbf788fa5, v42, -v121
	v_dual_add_f32 v10, v32, v10 :: v_dual_add_f32 v11, v33, v11
	v_add_f32_e32 v32, v109, v81
	v_add_f32_e32 v81, v166, v89
	v_fmac_f32_e32 v108, 0x3f62ad3f, v37
	v_fma_f32 v37, 0xbf3f9e67, v38, -v39
	v_fma_f32 v38, 0xbeb58ec6, v41, -v112
	v_fmac_f32_e32 v112, 0xbeb58ec6, v41
	v_fma_f32 v39, 0xbf3f9e67, v41, -v113
	v_fmac_f32_e32 v113, 0xbf3f9e67, v41
	v_fmamk_f32 v41, v42, 0xbeb58ec6, v117
	v_fma_f32 v117, 0xbeb58ec6, v42, -v117
	v_fma_f32 v42, 0x3f116cb1, v42, -v43
	;; [unrolled: 1-line block ×3, first 2 shown]
	v_fmac_f32_e32 v122, 0xbf3f9e67, v45
	v_dual_add_f32 v84, v16, v84 :: v_dual_add_f32 v11, v41, v11
	v_dual_mul_f32 v134, 0x3eedf032, v83 :: v_dual_mul_f32 v135, 0x3eedf032, v82
	v_fma_f32 v179, 0x3f62ad3f, v45, -v126
	v_dual_fmac_f32 v126, 0x3f62ad3f, v45 :: v_dual_add_f32 v19, v104, v19
	v_fma_f32 v180, 0xbeb58ec6, v45, -v48
	v_fmac_f32_e32 v48, 0xbeb58ec6, v45
	v_fmamk_f32 v45, v46, 0xbf3f9e67, v127
	v_fma_f32 v127, 0xbf3f9e67, v46, -v127
	v_dual_add_f32 v14, v88, v14 :: v_dual_add_f32 v15, v117, v15
	v_dual_add_f32 v51, v98, v84 :: v_dual_add_f32 v50, v17, v50
	v_add_f32_e32 v13, v40, v13
	s_delay_alu instid0(VALU_DEP_3) | instskip(SKIP_2) | instid1(VALU_DEP_4)
	v_dual_add_f32 v84, v153, v141 :: v_dual_add_f32 v15, v127, v15
	v_fma_f32 v187, 0x3f62ad3f, v79, -v134
	v_fmac_f32_e32 v134, 0x3f62ad3f, v79
	v_dual_add_f32 v88, v155, v143 :: v_dual_add_f32 v13, v44, v13
	s_delay_alu instid0(VALU_DEP_4) | instskip(SKIP_4) | instid1(VALU_DEP_4)
	v_dual_add_f32 v86, v16, v86 :: v_dual_add_f32 v33, v163, v84
	v_dual_add_f32 v16, v147, v27 :: v_dual_add_f32 v27, v149, v137
	v_fmamk_f32 v182, v46, 0x3f116cb1, v129
	v_fmamk_f32 v188, v80, 0x3f62ad3f, v135
	v_dual_add_f32 v20, v95, v50 :: v_dual_add_f32 v19, v113, v19
	v_dual_add_f32 v8, v8, v21 :: v_dual_add_f32 v21, v159, v27
	v_add_f32_e32 v27, v106, v29
	v_add_f32_e32 v29, v161, v49
	s_delay_alu instid0(VALU_DEP_4)
	v_dual_add_f32 v19, v123, v19 :: v_dual_add_f32 v12, v17, v12
	v_add_f32_e32 v17, v148, v28
	v_fma_f32 v128, 0x3df6dbef, v46, -v128
	v_fma_f32 v129, 0x3f116cb1, v46, -v129
	;; [unrolled: 1-line block ×3, first 2 shown]
	v_fmamk_f32 v184, v46, 0x3f62ad3f, v131
	v_fma_f32 v131, 0x3f62ad3f, v46, -v131
	v_fma_f32 v46, 0xbeb58ec6, v46, -v47
	;; [unrolled: 1-line block ×3, first 2 shown]
	v_dual_fmac_f32 v132, 0xbf788fa5, v79 :: v_dual_add_f32 v17, v158, v17
	v_add_f32_e32 v8, v8, v23
	v_add_f32_e32 v23, v114, v27
	;; [unrolled: 1-line block ×5, first 2 shown]
	v_dual_add_f32 v12, v31, v12 :: v_dual_add_f32 v31, v108, v51
	v_dual_add_f32 v51, v165, v88 :: v_dual_add_f32 v86, v100, v86
	;; [unrolled: 1-line block ×3, first 2 shown]
	v_add_f32_e32 v21, v167, v21
	s_delay_alu instid0(VALU_DEP_4) | instskip(NEXT) | instid1(VALU_DEP_4)
	v_add_f32_e32 v29, v115, v31
	v_add_f32_e32 v49, v110, v86
	v_dual_add_f32 v28, v150, v138 :: v_dual_add_f32 v31, v169, v33
	v_add_f32_e32 v17, v181, v17
	s_delay_alu instid0(VALU_DEP_3) | instskip(NEXT) | instid1(VALU_DEP_3)
	v_dual_add_f32 v12, v37, v12 :: v_dual_add_f32 v33, v116, v49
	v_dual_add_f32 v22, v160, v28 :: v_dual_add_f32 v37, v170, v51
	v_add_f32_e32 v28, v107, v30
	v_dual_add_f32 v30, v162, v50 :: v_dual_add_f32 v5, v9, v5
	v_dual_add_f32 v21, v177, v21 :: v_dual_add_f32 v10, v38, v10
	;; [unrolled: 1-line block ×3, first 2 shown]
	s_delay_alu instid0(VALU_DEP_3) | instskip(SKIP_1) | instid1(VALU_DEP_3)
	v_add_f32_e32 v5, v5, v7
	v_dual_add_f32 v85, v154, v142 :: v_dual_add_f32 v16, v157, v16
	v_add_f32_e32 v20, v118, v20
	v_fma_f32 v135, 0x3f62ad3f, v80, -v135
	s_delay_alu instid0(VALU_DEP_4) | instskip(SKIP_3) | instid1(VALU_DEP_3)
	v_add_f32_e32 v1, v5, v1
	v_add_f32_e32 v8, v8, v25
	v_dual_add_f32 v50, v111, v87 :: v_dual_add_f32 v13, v48, v13
	v_dual_add_f32 v38, v175, v81 :: v_dual_mul_f32 v5, 0xbf6f5d39, v82
	v_add_f32_e32 v4, v8, v4
	v_dual_add_f32 v36, v164, v85 :: v_dual_add_f32 v25, v178, v27
	s_delay_alu instid0(VALU_DEP_3)
	v_dual_add_f32 v9, v185, v38 :: v_dual_add_f32 v16, v39, v16
	v_add_f32_e32 v27, v125, v29
	v_dual_add_f32 v8, v180, v37 :: v_dual_add_f32 v37, v1, v3
	v_dual_add_f32 v4, v4, v6 :: v_dual_mul_f32 v3, 0x3f52af12, v83
	v_add_f32_e32 v20, v128, v20
	v_add_f32_e32 v22, v172, v22
	v_dual_add_f32 v10, v43, v10 :: v_dual_add_f32 v33, v126, v33
	s_delay_alu instid0(VALU_DEP_4) | instskip(NEXT) | instid1(VALU_DEP_3)
	v_dual_add_f32 v43, v186, v11 :: v_dual_add_f32 v0, v4, v0
	v_dual_add_f32 v39, v135, v20 :: v_dual_add_f32 v22, v182, v22
	v_add_f32_e32 v24, v119, v28
	v_add_f32_e32 v28, v173, v30
	;; [unrolled: 1-line block ×5, first 2 shown]
	v_dual_add_f32 v14, v102, v14 :: v_dual_add_f32 v23, v124, v23
	v_dual_add_f32 v45, v188, v17 :: v_dual_add_f32 v12, v42, v12
	s_delay_alu instid0(VALU_DEP_3)
	v_add_f32_e32 v84, v131, v36
	v_add_f32_e32 v36, v0, v2
	v_mul_f32_e32 v0, 0xbf29c268, v82
	v_add_f32_e32 v42, v47, v10
	v_fma_f32 v1, 0xbf3f9e67, v79, -v136
	v_fma_f32 v133, 0xbf788fa5, v80, -v133
	v_add_f32_e32 v14, v112, v14
	v_fmamk_f32 v2, v80, 0xbf3f9e67, v0
	v_fma_f32 v0, 0xbf3f9e67, v80, -v0
	s_delay_alu instid0(VALU_DEP_4) | instskip(NEXT) | instid1(VALU_DEP_3)
	v_dual_add_f32 v6, v46, v12 :: v_dual_add_f32 v29, v133, v15
	v_dual_add_f32 v46, v1, v21 :: v_dual_add_f32 v47, v2, v22
	v_add_f32_e32 v24, v129, v24
	v_fma_f32 v1, 0x3f116cb1, v79, -v3
	v_dual_fmac_f32 v3, 0x3f116cb1, v79 :: v_dual_add_f32 v14, v122, v14
	s_delay_alu instid0(VALU_DEP_3) | instskip(SKIP_1) | instid1(VALU_DEP_3)
	v_dual_mul_f32 v2, 0x3f52af12, v82 :: v_dual_add_f32 v41, v0, v24
	v_mul_f32_e32 v0, 0xbf6f5d39, v83
	v_add_f32_e32 v48, v3, v27
	v_dual_mul_f32 v3, 0x3f7e222b, v83 :: v_dual_add_f32 v26, v183, v28
	v_add_f32_e32 v50, v1, v25
	s_delay_alu instid0(VALU_DEP_4)
	v_fma_f32 v4, 0xbeb58ec6, v79, -v0
	v_fmac_f32_e32 v0, 0xbeb58ec6, v79
	v_fmamk_f32 v1, v80, 0x3f116cb1, v2
	v_fma_f32 v2, 0x3f116cb1, v80, -v2
	v_add_f32_e32 v32, v184, v32
	v_add_f32_e32 v81, v4, v31
	;; [unrolled: 1-line block ×3, first 2 shown]
	v_fma_f32 v0, 0x3df6dbef, v79, -v3
	v_add_f32_e32 v30, v130, v30
	v_add_f32_e32 v51, v1, v26
	v_fmamk_f32 v1, v80, 0xbeb58ec6, v5
	s_delay_alu instid0(VALU_DEP_4) | instskip(NEXT) | instid1(VALU_DEP_4)
	v_dual_mul_f32 v4, 0x3f7e222b, v82 :: v_dual_add_f32 v87, v0, v8
	v_add_f32_e32 v49, v2, v30
	v_fma_f32 v2, 0xbeb58ec6, v80, -v5
	v_dual_add_f32 v16, v176, v16 :: v_dual_fmac_f32 v3, 0x3df6dbef, v79
	v_fmac_f32_e32 v136, 0xbf3f9e67, v79
	v_add_f32_e32 v82, v1, v32
	s_delay_alu instid0(VALU_DEP_4)
	v_dual_add_f32 v84, v2, v84 :: v_dual_fmamk_f32 v1, v80, 0x3df6dbef, v4
	v_fma_f32 v2, 0x3df6dbef, v80, -v4
	v_mul_u32_u24_e32 v4, 13, v91
	v_add_f32_e32 v28, v132, v14
	v_add_f32_e32 v44, v187, v16
	;; [unrolled: 1-line block ×5, first 2 shown]
	v_dual_add_f32 v85, v3, v13 :: v_dual_add_f32 v86, v2, v6
	v_add_lshl_u32 v95, v18, v4, 3
	ds_store_2addr_b64 v95, v[36:37], v[42:43] offset1:1
	ds_store_2addr_b64 v95, v[44:45], v[46:47] offset0:2 offset1:3
	ds_store_2addr_b64 v95, v[50:51], v[81:82] offset0:4 offset1:5
	;; [unrolled: 1-line block ×5, first 2 shown]
	ds_store_b64 v95, v[28:29] offset:96
	global_wb scope:SCOPE_SE
	s_wait_dscnt 0x0
	s_barrier_signal -1
	s_barrier_wait -1
	global_inv scope:SCOPE_SE
                                        ; implicit-def: $vgpr89
                                        ; implicit-def: $vgpr32
	s_and_saveexec_b32 s0, vcc_lo
	s_cbranch_execz .LBB0_3
; %bb.2:
	ds_load_2addr_b64 v[26:29], v92 offset0:143 offset1:156
	ds_load_2addr_b64 v[0:3], v92 offset0:117 offset1:130
	;; [unrolled: 1-line block ×7, first 2 shown]
	ds_load_b64 v[36:37], v93
	ds_load_b64 v[89:90], v92 offset:1560
	s_wait_dscnt 0x8
	v_dual_mov_b32 v38, v26 :: v_dual_mov_b32 v39, v27
	s_wait_dscnt 0x7
	v_dual_mov_b32 v40, v2 :: v_dual_mov_b32 v41, v3
	v_dual_mov_b32 v48, v0 :: v_dual_mov_b32 v49, v1
	s_wait_dscnt 0x6
	v_dual_mov_b32 v83, v6 :: v_dual_mov_b32 v84, v7
	;; [unrolled: 3-line block ×5, first 2 shown]
	v_dual_mov_b32 v42, v16 :: v_dual_mov_b32 v43, v17
.LBB0_3:
	s_wait_alu 0xfffe
	s_or_b32 exec_lo, exec_lo, s0
	v_add_nc_u32_e32 v0, -13, v91
	s_delay_alu instid0(VALU_DEP_1) | instskip(NEXT) | instid1(VALU_DEP_1)
	v_cndmask_b32_e32 v0, v0, v91, vcc_lo
	v_mul_i32_i24_e32 v1, 0x78, v0
	v_mul_hi_i32_i24_e32 v0, 0x78, v0
	s_delay_alu instid0(VALU_DEP_2) | instskip(SKIP_1) | instid1(VALU_DEP_2)
	v_add_co_u32 v79, s0, s10, v1
	s_wait_alu 0xf1ff
	v_add_co_ci_u32_e64 v80, s0, s11, v0, s0
	s_clause 0x7
	global_load_b128 v[8:11], v[79:80], off
	global_load_b128 v[4:7], v[79:80], off offset:16
	global_load_b128 v[12:15], v[79:80], off offset:32
	;; [unrolled: 1-line block ×6, first 2 shown]
	global_load_b64 v[79:80], v[79:80], off offset:112
	s_wait_loadcnt 0x7
	v_mul_f32_e32 v97, v42, v9
	s_wait_loadcnt 0x6
	v_dual_mul_f32 v101, v46, v5 :: v_dual_mul_f32 v98, v45, v11
	v_dual_mul_f32 v96, v43, v9 :: v_dual_mul_f32 v99, v44, v11
	s_wait_loadcnt_dscnt 0x102
	v_dual_mul_f32 v114, v41, v23 :: v_dual_mul_f32 v121, v30, v25
	v_dual_mul_f32 v102, v51, v7 :: v_dual_mul_f32 v105, v81, v13
	;; [unrolled: 1-line block ×6, first 2 shown]
	v_mul_f32_e32 v113, v48, v21
	v_dual_mul_f32 v116, v39, v17 :: v_dual_mul_f32 v119, v28, v19
	v_dual_mul_f32 v118, v29, v19 :: v_dual_fmac_f32 v97, v43, v8
	v_dual_mul_f32 v120, v31, v25 :: v_dual_mul_f32 v123, v32, v27
	v_dual_mul_f32 v122, v33, v27 :: v_dual_fmac_f32 v101, v47, v4
	v_fma_f32 v43, v44, v10, -v98
	v_fma_f32 v40, v40, v22, -v114
	v_dual_mul_f32 v100, v47, v5 :: v_dual_mul_f32 v103, v50, v7
	s_wait_loadcnt_dscnt 0x0
	v_dual_mul_f32 v124, v90, v80 :: v_dual_fmac_f32 v99, v45, v10
	v_fma_f32 v45, v50, v6, -v102
	v_fma_f32 v50, v87, v14, -v106
	v_dual_fmac_f32 v107, v88, v14 :: v_dual_sub_f32 v40, v43, v40
	v_fma_f32 v47, v83, v2, -v110
	v_mul_f32_e32 v125, v89, v80
	v_fma_f32 v28, v28, v18, -v118
	v_fmac_f32_e32 v119, v29, v18
	v_fma_f32 v29, v30, v24, -v120
	v_fma_f32 v30, v32, v26, -v122
	v_dual_mul_f32 v108, v86, v1 :: v_dual_mul_f32 v111, v83, v3
	v_fma_f32 v44, v46, v4, -v100
	v_dual_fmac_f32 v103, v51, v6 :: v_dual_sub_f32 v28, v45, v28
	s_delay_alu instid0(VALU_DEP_4) | instskip(SKIP_3) | instid1(VALU_DEP_4)
	v_dual_fmac_f32 v113, v49, v20 :: v_dual_sub_f32 v30, v50, v30
	v_fmac_f32_e32 v109, v86, v0
	v_fma_f32 v38, v38, v16, -v116
	v_sub_f32_e32 v32, v36, v47
	v_dual_sub_f32 v88, v97, v113 :: v_dual_fmac_f32 v125, v90, v79
	v_fma_f32 v46, v81, v12, -v104
	v_fmac_f32_e32 v117, v39, v16
	v_fmac_f32_e32 v121, v31, v24
	v_fma_f32 v31, v89, v79, -v124
	v_dual_sub_f32 v89, v44, v38 :: v_dual_sub_f32 v38, v109, v125
	s_delay_alu instid0(VALU_DEP_4)
	v_dual_fmac_f32 v111, v84, v2 :: v_dual_sub_f32 v90, v101, v117
	v_fma_f32 v42, v42, v8, -v96
	v_fma_f32 v48, v48, v20, -v112
	v_sub_f32_e32 v29, v46, v29
	v_fma_f32 v43, v43, 2.0, -v40
	v_fma_f32 v96, v50, 2.0, -v30
	v_sub_f32_e32 v81, v37, v111
	v_fma_f32 v51, v85, v0, -v108
	v_add_f32_e32 v85, v88, v29
	v_fma_f32 v84, v44, 2.0, -v89
	v_sub_f32_e32 v96, v43, v96
	v_fma_f32 v47, v37, 2.0, -v81
	v_fma_f32 v37, v45, 2.0, -v28
	;; [unrolled: 1-line block ×4, first 2 shown]
	v_sub_f32_e32 v29, v89, v38
	v_sub_f32_e32 v87, v42, v48
	v_fmac_f32_e32 v123, v33, v26
	v_add_f32_e32 v46, v81, v28
	v_fma_f32 v48, v101, 2.0, -v90
	v_fma_f32 v102, v109, 2.0, -v38
	;; [unrolled: 1-line block ×3, first 2 shown]
	v_sub_f32_e32 v39, v107, v123
	s_delay_alu instid0(VALU_DEP_1) | instskip(SKIP_3) | instid1(VALU_DEP_3)
	v_sub_f32_e32 v28, v40, v39
	v_sub_f32_e32 v33, v103, v119
	v_fmac_f32_e32 v115, v41, v22
	v_fma_f32 v41, v36, 2.0, -v32
	v_dual_sub_f32 v36, v32, v33 :: v_dual_fmac_f32 v105, v82, v12
	s_delay_alu instid0(VALU_DEP_3) | instskip(SKIP_1) | instid1(VALU_DEP_3)
	v_sub_f32_e32 v82, v99, v115
	v_fma_f32 v86, v103, 2.0, -v33
	v_fma_f32 v33, v32, 2.0, -v36
	v_fmamk_f32 v32, v28, 0x3f3504f3, v36
	s_delay_alu instid0(VALU_DEP_4) | instskip(SKIP_3) | instid1(VALU_DEP_4)
	v_dual_add_f32 v30, v82, v30 :: v_dual_sub_f32 v83, v105, v121
	v_sub_f32_e32 v31, v51, v31
	v_fma_f32 v49, v99, 2.0, -v82
	v_fma_f32 v98, v107, 2.0, -v39
	v_fmac_f32_e32 v32, 0xbf3504f3, v30
	v_fma_f32 v100, v105, 2.0, -v83
	v_fma_f32 v101, v51, 2.0, -v31
	;; [unrolled: 1-line block ×3, first 2 shown]
	v_sub_f32_e32 v99, v49, v98
	s_delay_alu instid0(VALU_DEP_3) | instskip(SKIP_3) | instid1(VALU_DEP_2)
	v_sub_f32_e32 v101, v84, v101
	v_dual_sub_f32 v51, v47, v86 :: v_dual_sub_f32 v86, v45, v100
	v_fmamk_f32 v100, v30, 0x3f3504f3, v46
	v_dual_sub_f32 v42, v87, v83 :: v_dual_sub_f32 v83, v50, v97
	v_dual_fmac_f32 v100, 0x3f3504f3, v28 :: v_dual_sub_f32 v97, v48, v102
	s_delay_alu instid0(VALU_DEP_2) | instskip(SKIP_1) | instid1(VALU_DEP_3)
	v_dual_add_f32 v31, v90, v31 :: v_dual_fmamk_f32 v98, v29, 0x3f3504f3, v42
	v_fma_f32 v38, v87, 2.0, -v42
	v_sub_f32_e32 v102, v83, v97
	s_delay_alu instid0(VALU_DEP_3) | instskip(SKIP_3) | instid1(VALU_DEP_4)
	v_dual_sub_f32 v39, v41, v37 :: v_dual_fmac_f32 v98, 0xbf3504f3, v31
	v_fma_f32 v37, v81, 2.0, -v46
	v_fma_f32 v81, v40, 2.0, -v28
	;; [unrolled: 1-line block ×3, first 2 shown]
	v_sub_f32_e32 v90, v39, v99
	v_fma_f32 v44, v88, 2.0, -v85
	v_fmamk_f32 v88, v82, 0xbf3504f3, v37
	v_fma_f32 v106, v89, 2.0, -v29
	v_fmamk_f32 v40, v81, 0xbf3504f3, v33
	v_fmamk_f32 v105, v31, 0x3f3504f3, v85
	v_fmamk_f32 v89, v107, 0xbf3504f3, v44
	v_fmamk_f32 v30, v102, 0x3f3504f3, v90
	v_fmamk_f32 v87, v106, 0xbf3504f3, v38
	v_add_f32_e32 v104, v86, v101
	v_fmac_f32_e32 v40, 0xbf3504f3, v82
	v_fmac_f32_e32 v105, 0x3f3504f3, v29
	;; [unrolled: 1-line block ×3, first 2 shown]
	s_delay_alu instid0(VALU_DEP_4) | instskip(SKIP_3) | instid1(VALU_DEP_4)
	v_dual_fmac_f32 v87, 0xbf3504f3, v107 :: v_dual_fmac_f32 v30, 0xbf3504f3, v104
	v_fmac_f32_e32 v89, 0x3f3504f3, v106
	v_fmamk_f32 v81, v98, 0x3f6c835e, v32
	v_fmamk_f32 v82, v105, 0x3f6c835e, v100
	;; [unrolled: 1-line block ×3, first 2 shown]
	v_add_f32_e32 v103, v51, v96
	v_fmamk_f32 v29, v89, 0x3ec3ef15, v88
	v_fmac_f32_e32 v81, 0xbec3ef15, v105
	v_fmac_f32_e32 v82, 0x3ec3ef15, v98
	;; [unrolled: 1-line block ×3, first 2 shown]
	v_fmamk_f32 v31, v104, 0x3f3504f3, v103
	v_fmac_f32_e32 v29, 0x3f6c835e, v87
	s_delay_alu instid0(VALU_DEP_2)
	v_fmac_f32_e32 v31, 0x3f3504f3, v102
	s_and_saveexec_b32 s0, vcc_lo
	s_cbranch_execz .LBB0_5
; %bb.4:
	v_fma_f32 v109, v47, 2.0, -v51
	v_fma_f32 v47, v49, 2.0, -v99
	;; [unrolled: 1-line block ×8, first 2 shown]
	v_dual_sub_f32 v97, v109, v47 :: v_dual_sub_f32 v110, v99, v49
	v_fma_f32 v47, v46, 2.0, -v100
	v_fma_f32 v84, v85, 2.0, -v105
	s_delay_alu instid0(VALU_DEP_4)
	v_dual_sub_f32 v111, v101, v43 :: v_dual_sub_f32 v112, v96, v45
	v_fma_f32 v51, v51, 2.0, -v103
	v_fma_f32 v85, v86, 2.0, -v104
	;; [unrolled: 1-line block ×4, first 2 shown]
	v_fmamk_f32 v43, v84, 0xbec3ef15, v47
	v_fma_f32 v107, v90, 2.0, -v30
	v_fma_f32 v83, v83, 2.0, -v102
	;; [unrolled: 1-line block ×3, first 2 shown]
	v_fmamk_f32 v48, v85, 0xbf3504f3, v51
	v_fmac_f32_e32 v43, 0x3f6c835e, v42
	v_fma_f32 v41, v88, 2.0, -v29
	v_fma_f32 v88, v37, 2.0, -v88
	;; [unrolled: 1-line block ×5, first 2 shown]
	v_fmamk_f32 v47, v83, 0xbf3504f3, v90
	v_fma_f32 v87, v101, 2.0, -v111
	v_fma_f32 v89, v99, 2.0, -v110
	v_fmac_f32_e32 v48, 0x3f3504f3, v83
	v_fmamk_f32 v42, v42, 0xbec3ef15, v36
	v_fma_f32 v33, v33, 2.0, -v40
	v_fma_f32 v86, v96, 2.0, -v112
	v_fmac_f32_e32 v47, 0xbf3504f3, v85
	v_sub_f32_e32 v85, v87, v89
	v_fma_f32 v39, v51, 2.0, -v48
	v_fma_f32 v51, v109, 2.0, -v97
	v_dual_fmac_f32 v42, 0xbf6c835e, v84 :: v_dual_fmamk_f32 v83, v38, 0xbf6c835e, v33
	v_fmamk_f32 v84, v44, 0xbf6c835e, v88
	v_dual_add_f32 v46, v97, v110 :: v_dual_sub_f32 v45, v111, v112
	s_delay_alu instid0(VALU_DEP_3) | instskip(NEXT) | instid1(VALU_DEP_3)
	v_dual_sub_f32 v86, v51, v86 :: v_dual_fmac_f32 v83, 0xbec3ef15, v44
	v_fmac_f32_e32 v84, 0x3ec3ef15, v38
	v_fma_f32 v38, v90, 2.0, -v47
	v_fma_f32 v89, v87, 2.0, -v85
	s_delay_alu instid0(VALU_DEP_4)
	v_fma_f32 v90, v51, 2.0, -v86
	v_fma_f32 v87, v33, 2.0, -v83
	;; [unrolled: 1-line block ×10, first 2 shown]
	ds_store_b64 v93, v[89:90]
	ds_store_2addr_b64 v92, v[87:88], v[38:39] offset0:13 offset1:26
	ds_store_2addr_b64 v92, v[36:37], v[49:50] offset0:39 offset1:52
	;; [unrolled: 1-line block ×7, first 2 shown]
	ds_store_b64 v92, v[81:82] offset:1560
.LBB0_5:
	s_wait_alu 0xfffe
	s_or_b32 exec_lo, exec_lo, s0
	global_wb scope:SCOPE_SE
	s_wait_dscnt 0x0
	s_barrier_signal -1
	s_barrier_wait -1
	global_inv scope:SCOPE_SE
	global_load_b64 v[32:33], v[34:35], off offset:1664
	s_add_nc_u64 s[0:1], s[8:9], 0x680
	s_clause 0xb
	global_load_b64 v[87:88], v94, s[0:1] offset:128
	global_load_b64 v[89:90], v94, s[0:1] offset:256
	;; [unrolled: 1-line block ×12, first 2 shown]
	ds_load_b64 v[34:35], v93
	s_wait_loadcnt_dscnt 0xc00
	v_mul_f32_e32 v36, v35, v33
	v_mul_f32_e32 v37, v34, v33
	s_delay_alu instid0(VALU_DEP_2) | instskip(NEXT) | instid1(VALU_DEP_2)
	v_fma_f32 v36, v34, v32, -v36
	v_fmac_f32_e32 v37, v35, v32
	ds_store_b64 v93, v[36:37]
	ds_load_2addr_b64 v[32:35], v92 offset0:16 offset1:32
	ds_load_2addr_b64 v[36:39], v92 offset0:48 offset1:64
	;; [unrolled: 1-line block ×6, first 2 shown]
	s_wait_loadcnt_dscnt 0xb05
	v_mul_f32_e32 v94, v33, v88
	s_wait_loadcnt 0xa
	v_dual_mul_f32 v116, v32, v88 :: v_dual_mul_f32 v117, v35, v90
	v_mul_f32_e32 v88, v34, v90
	s_wait_loadcnt_dscnt 0x804
	v_dual_mul_f32 v118, v37, v97 :: v_dual_mul_f32 v119, v39, v99
	s_wait_loadcnt_dscnt 0x603
	v_dual_mul_f32 v90, v36, v97 :: v_dual_mul_f32 v121, v43, v103
	v_dual_mul_f32 v97, v38, v99 :: v_dual_mul_f32 v120, v41, v101
	v_dual_mul_f32 v99, v40, v101 :: v_dual_fmac_f32 v116, v33, v87
	s_wait_loadcnt_dscnt 0x502
	v_dual_mul_f32 v101, v42, v103 :: v_dual_mul_f32 v122, v45, v105
	s_wait_loadcnt 0x4
	v_mul_f32_e32 v123, v47, v107
	v_dual_mul_f32 v103, v44, v105 :: v_dual_fmac_f32 v90, v37, v96
	s_wait_loadcnt_dscnt 0x301
	v_dual_mul_f32 v105, v46, v107 :: v_dual_mul_f32 v124, v49, v109
	v_mul_f32_e32 v107, v48, v109
	s_wait_loadcnt_dscnt 0x100
	v_dual_mul_f32 v125, v51, v111 :: v_dual_mul_f32 v126, v84, v113
	v_dual_mul_f32 v109, v50, v111 :: v_dual_fmac_f32 v88, v35, v89
	v_mul_f32_e32 v111, v83, v113
	s_wait_loadcnt 0x0
	v_mul_f32_e32 v127, v86, v115
	v_mul_f32_e32 v113, v85, v115
	v_fma_f32 v115, v32, v87, -v94
	v_fma_f32 v87, v34, v89, -v117
	;; [unrolled: 1-line block ×4, first 2 shown]
	v_fmac_f32_e32 v97, v39, v98
	v_fma_f32 v98, v40, v100, -v120
	v_fmac_f32_e32 v99, v41, v100
	v_fma_f32 v100, v42, v102, -v121
	;; [unrolled: 2-line block ×8, first 2 shown]
	v_fmac_f32_e32 v113, v86, v114
	ds_store_2addr_b64 v92, v[115:116], v[87:88] offset0:16 offset1:32
	ds_store_2addr_b64 v92, v[89:90], v[96:97] offset0:48 offset1:64
	;; [unrolled: 1-line block ×6, first 2 shown]
	global_wb scope:SCOPE_SE
	s_wait_dscnt 0x0
	s_barrier_signal -1
	s_barrier_wait -1
	global_inv scope:SCOPE_SE
	ds_load_b64 v[83:84], v93
	ds_load_2addr_b64 v[85:88], v92 offset0:16 offset1:32
	ds_load_2addr_b64 v[40:43], v92 offset0:176 offset1:192
	;; [unrolled: 1-line block ×6, first 2 shown]
	global_wb scope:SCOPE_SE
	s_wait_dscnt 0x0
	s_barrier_signal -1
	s_barrier_wait -1
	global_inv scope:SCOPE_SE
	v_dual_add_f32 v90, v84, v86 :: v_dual_add_f32 v89, v83, v85
	v_add_f32_e32 v96, v43, v86
	v_sub_f32_e32 v86, v86, v43
	v_add_f32_e32 v98, v41, v88
	v_sub_f32_e32 v100, v88, v41
	v_add_f32_e32 v88, v90, v88
	v_dual_add_f32 v94, v42, v85 :: v_dual_sub_f32 v85, v85, v42
	v_dual_mul_f32 v90, 0x3f62ad3f, v96 :: v_dual_add_f32 v97, v40, v87
	v_mul_f32_e32 v116, 0x3f116cb1, v96
	v_sub_f32_e32 v99, v87, v40
	v_dual_add_f32 v102, v47, v49 :: v_dual_sub_f32 v103, v48, v46
	v_mul_f32_e32 v118, 0x3df6dbef, v96
	v_dual_sub_f32 v104, v49, v47 :: v_dual_add_f32 v105, v44, v50
	v_mul_f32_e32 v120, 0xbeb58ec6, v96
	v_dual_sub_f32 v107, v50, v44 :: v_dual_mul_f32 v126, 0xbeb58ec6, v98
	v_dual_sub_f32 v108, v51, v45 :: v_dual_sub_f32 v111, v32, v38
	v_mul_f32_e32 v122, 0xbf3f9e67, v96
	v_dual_sub_f32 v112, v33, v39 :: v_dual_add_f32 v113, v36, v34
	v_dual_mul_f32 v96, 0xbf788fa5, v96 :: v_dual_add_f32 v87, v89, v87
	v_mul_f32_e32 v130, 0xbf3f9e67, v98
	v_mul_f32_e32 v89, 0xbeedf032, v86
	;; [unrolled: 1-line block ×7, first 2 shown]
	v_dual_mul_f32 v132, 0x3df6dbef, v98 :: v_dual_add_f32 v49, v88, v49
	v_mul_f32_e32 v131, 0x3f7e222b, v100
	v_dual_add_f32 v101, v46, v48 :: v_dual_mul_f32 v124, 0x3f116cb1, v98
	v_dual_add_f32 v109, v38, v32 :: v_dual_mul_f32 v128, 0xbf788fa5, v98
	;; [unrolled: 1-line block ×3, first 2 shown]
	v_mul_f32_e32 v125, 0xbf6f5d39, v100
	v_mul_f32_e32 v127, 0xbe750f2a, v100
	;; [unrolled: 1-line block ×7, first 2 shown]
	v_dual_mul_f32 v139, 0x3eedf032, v104 :: v_dual_fmamk_f32 v88, v85, 0x3eedf032, v90
	v_mul_f32_e32 v142, 0x3f116cb1, v102
	v_mul_f32_e32 v141, 0xbf52af12, v104
	;; [unrolled: 1-line block ×3, first 2 shown]
	v_dual_add_f32 v48, v87, v48 :: v_dual_fmamk_f32 v87, v94, 0x3f62ad3f, v89
	v_fmamk_f32 v165, v85, 0x3f52af12, v116
	v_fmac_f32_e32 v116, 0xbf52af12, v85
	v_fmamk_f32 v167, v85, 0x3f7e222b, v118
	v_fmac_f32_e32 v118, 0xbf7e222b, v85
	;; [unrolled: 2-line block ×3, first 2 shown]
	v_dual_add_f32 v116, v84, v116 :: v_dual_fmamk_f32 v175, v99, 0x3f6f5d39, v126
	s_delay_alu instid0(VALU_DEP_4)
	v_add_f32_e32 v118, v84, v118
	v_fmac_f32_e32 v126, 0xbf6f5d39, v99
	v_mul_f32_e32 v138, 0xbeb58ec6, v102
	v_mul_f32_e32 v137, 0x3f6f5d39, v104
	;; [unrolled: 1-line block ×3, first 2 shown]
	v_fmamk_f32 v181, v99, 0xbf7e222b, v132
	v_fmac_f32_e32 v132, 0x3f7e222b, v99
	v_fmamk_f32 v180, v97, 0x3df6dbef, v131
	v_fmamk_f32 v170, v94, 0xbf3f9e67, v121
	v_fma_f32 v121, 0xbf3f9e67, v94, -v121
	v_add_f32_e32 v106, v45, v51
	v_dual_mul_f32 v100, 0x3eedf032, v100 :: v_dual_add_f32 v49, v49, v51
	v_mul_f32_e32 v153, 0xbf29c268, v112
	s_delay_alu instid0(VALU_DEP_4)
	v_dual_mul_f32 v156, 0x3df6dbef, v110 :: v_dual_add_f32 v121, v83, v121
	v_fma_f32 v89, 0x3f62ad3f, v94, -v89
	v_fma_f32 v131, 0x3df6dbef, v97, -v131
	v_fmamk_f32 v172, v94, 0xbf788fa5, v86
	v_fma_f32 v86, 0xbf788fa5, v94, -v86
	v_fmac_f32_e32 v90, 0xbeedf032, v85
	v_fmamk_f32 v169, v85, 0x3f6f5d39, v120
	v_fmac_f32_e32 v120, 0xbf6f5d39, v85
	v_dual_add_f32 v48, v48, v50 :: v_dual_fmamk_f32 v171, v85, 0x3f29c268, v122
	v_fmac_f32_e32 v122, 0xbf29c268, v85
	v_fmamk_f32 v179, v99, 0xbf29c268, v130
	v_fmac_f32_e32 v130, 0x3f29c268, v99
	v_fmamk_f32 v178, v97, 0xbf3f9e67, v129
	v_fmamk_f32 v174, v97, 0xbeb58ec6, v125
	v_fma_f32 v125, 0xbeb58ec6, v97, -v125
	v_fmamk_f32 v164, v94, 0x3f116cb1, v115
	v_fma_f32 v115, 0x3f116cb1, v94, -v115
	v_dual_mul_f32 v136, 0xbf788fa5, v102 :: v_dual_add_f32 v51, v84, v88
	v_mul_f32_e32 v140, 0x3f62ad3f, v102
	s_delay_alu instid0(VALU_DEP_3)
	v_dual_mul_f32 v146, 0xbf3f9e67, v106 :: v_dual_add_f32 v115, v83, v115
	v_mul_f32_e32 v155, 0x3f7e222b, v112
	v_mul_f32_e32 v158, 0x3f116cb1, v110
	v_dual_mul_f32 v160, 0xbf788fa5, v110 :: v_dual_add_f32 v33, v49, v33
	v_mul_f32_e32 v159, 0x3e750f2a, v112
	v_dual_fmamk_f32 v177, v99, 0x3e750f2a, v128 :: v_dual_add_f32 v120, v84, v120
	v_fmac_f32_e32 v128, 0xbe750f2a, v99
	v_fma_f32 v129, 0xbf3f9e67, v97, -v129
	v_fmamk_f32 v184, v101, 0xbf788fa5, v135
	v_fmamk_f32 v182, v97, 0x3f62ad3f, v100
	;; [unrolled: 1-line block ×4, first 2 shown]
	v_fma_f32 v117, 0x3df6dbef, v94, -v117
	v_add_f32_e32 v50, v83, v87
	v_dual_mul_f32 v148, 0x3f62ad3f, v106 :: v_dual_add_f32 v87, v83, v89
	v_dual_mul_f32 v161, 0x3eedf032, v112 :: v_dual_add_f32 v88, v84, v90
	v_mul_f32_e32 v152, 0xbf788fa5, v106
	v_add_f32_e32 v90, v84, v165
	v_dual_mul_f32 v154, 0xbf3f9e67, v110 :: v_dual_add_f32 v165, v84, v167
	v_add_f32_e32 v167, v84, v169
	v_add_f32_e32 v169, v84, v171
	;; [unrolled: 1-line block ×3, first 2 shown]
	v_mul_f32_e32 v157, 0xbf52af12, v112
	v_mul_f32_e32 v112, 0xbf6f5d39, v112
	v_fmamk_f32 v168, v94, 0xbeb58ec6, v119
	v_fma_f32 v119, 0xbeb58ec6, v94, -v119
	v_fmamk_f32 v94, v99, 0x3f52af12, v124
	v_fmac_f32_e32 v124, 0xbf52af12, v99
	v_fmamk_f32 v85, v97, 0x3f116cb1, v123
	v_fma_f32 v123, 0x3f116cb1, v97, -v123
	v_sub_f32_e32 v114, v35, v37
	v_dual_fmamk_f32 v183, v99, 0xbeedf032, v98 :: v_dual_add_f32 v32, v48, v32
	s_delay_alu instid0(VALU_DEP_4) | instskip(NEXT) | instid1(VALU_DEP_4)
	v_dual_fmamk_f32 v185, v103, 0x3e750f2a, v136 :: v_dual_add_f32 v48, v85, v50
	v_add_f32_e32 v50, v123, v87
	v_dual_add_f32 v87, v125, v115 :: v_dual_mul_f32 v144, 0xbeb58ec6, v106
	v_dual_add_f32 v89, v83, v164 :: v_dual_mul_f32 v150, 0x3df6dbef, v106
	;; [unrolled: 1-line block ×3, first 2 shown]
	v_add_f32_e32 v119, v83, v119
	v_dual_mul_f32 v163, 0xbe750f2a, v114 :: v_dual_fmac_f32 v136, 0xbe750f2a, v103
	v_fma_f32 v127, 0xbf788fa5, v97, -v127
	v_fma_f32 v135, 0xbf788fa5, v101, -v135
	v_fmamk_f32 v187, v103, 0xbf6f5d39, v138
	v_dual_add_f32 v85, v174, v89 :: v_dual_mul_f32 v162, 0x3f62ad3f, v110
	v_dual_add_f32 v49, v94, v51 :: v_dual_mul_f32 v110, 0xbeb58ec6, v110
	v_add_f32_e32 v51, v124, v88
	v_dual_add_f32 v88, v126, v116 :: v_dual_fmamk_f32 v209, v111, 0xbe750f2a, v160
	v_dual_add_f32 v164, v83, v166 :: v_dual_add_f32 v33, v33, v35
	v_add_f32_e32 v121, v131, v121
	s_delay_alu instid0(VALU_DEP_3)
	v_dual_add_f32 v87, v135, v87 :: v_dual_add_f32 v88, v136, v88
	v_dual_add_f32 v94, v127, v117 :: v_dual_add_f32 v117, v129, v119
	v_add_f32_e32 v166, v83, v168
	v_add_f32_e32 v168, v83, v170
	;; [unrolled: 1-line block ×3, first 2 shown]
	v_mul_f32_e32 v145, 0x3f29c268, v108
	v_dual_mul_f32 v147, 0x3eedf032, v108 :: v_dual_fmac_f32 v98, 0x3eedf032, v99
	v_fma_f32 v97, 0x3f62ad3f, v97, -v100
	v_fmamk_f32 v100, v103, 0x3f7e222b, v134
	v_fmac_f32_e32 v134, 0xbf7e222b, v103
	v_fmamk_f32 v99, v101, 0x3df6dbef, v133
	v_add_f32_e32 v85, v184, v85
	v_add_f32_e32 v123, v182, v170
	v_dual_add_f32 v89, v176, v164 :: v_dual_fmamk_f32 v188, v101, 0x3f62ad3f, v139
	v_fma_f32 v139, 0x3f62ad3f, v101, -v139
	v_mul_f32_e32 v149, 0xbf7e222b, v108
	v_mul_f32_e32 v151, 0x3e750f2a, v108
	v_dual_mul_f32 v108, 0x3f52af12, v108 :: v_dual_fmamk_f32 v191, v103, 0x3f52af12, v142
	v_fmac_f32_e32 v142, 0xbf52af12, v103
	v_fmamk_f32 v190, v101, 0x3f116cb1, v141
	v_fmamk_f32 v195, v107, 0xbf29c268, v146
	v_fmac_f32_e32 v146, 0x3f29c268, v107
	v_dual_add_f32 v48, v99, v48 :: v_dual_add_f32 v51, v134, v51
	v_add_f32_e32 v119, v180, v168
	v_dual_add_f32 v99, v139, v117 :: v_dual_fmamk_f32 v192, v101, 0xbf3f9e67, v104
	v_fmamk_f32 v194, v105, 0xbf3f9e67, v145
	v_fma_f32 v145, 0xbf3f9e67, v105, -v145
	v_fma_f32 v133, 0x3df6dbef, v101, -v133
	v_fmac_f32_e32 v138, 0x3f6f5d39, v103
	v_fma_f32 v141, 0x3f116cb1, v101, -v141
	v_add_f32_e32 v83, v83, v86
	v_add_f32_e32 v49, v100, v49
	;; [unrolled: 1-line block ×4, first 2 shown]
	v_dual_add_f32 v115, v178, v166 :: v_dual_fmamk_f32 v186, v101, 0xbeb58ec6, v137
	v_fma_f32 v137, 0xbeb58ec6, v101, -v137
	v_fma_f32 v101, 0xbf3f9e67, v101, -v104
	v_dual_fmamk_f32 v104, v107, 0x3f6f5d39, v144 :: v_dual_add_f32 v83, v97, v83
	v_fmac_f32_e32 v144, 0xbf6f5d39, v107
	v_dual_add_f32 v86, v175, v90 :: v_dual_add_f32 v33, v33, v39
	v_mul_f32_e32 v102, 0xbf3f9e67, v102
	s_delay_alu instid0(VALU_DEP_4) | instskip(SKIP_1) | instid1(VALU_DEP_4)
	v_dual_fmamk_f32 v196, v105, 0x3f62ad3f, v147 :: v_dual_add_f32 v49, v104, v49
	v_dual_fmamk_f32 v203, v107, 0xbf52af12, v106 :: v_dual_add_f32 v32, v32, v34
	v_dual_add_f32 v33, v33, v45 :: v_dual_add_f32 v122, v84, v122
	v_fmamk_f32 v199, v107, 0x3f7e222b, v150
	v_fmac_f32_e32 v150, 0xbf7e222b, v107
	v_dual_add_f32 v84, v84, v96 :: v_dual_fmamk_f32 v197, v107, 0xbeedf032, v148
	v_fmamk_f32 v201, v107, 0xbe750f2a, v152
	v_fmac_f32_e32 v152, 0x3e750f2a, v107
	v_add_f32_e32 v96, v128, v118
	s_delay_alu instid0(VALU_DEP_4)
	v_dual_add_f32 v84, v98, v84 :: v_dual_add_f32 v97, v188, v115
	v_dual_add_f32 v89, v186, v89 :: v_dual_fmamk_f32 v200, v105, 0xbf788fa5, v151
	v_fma_f32 v151, 0xbf788fa5, v105, -v151
	v_fmac_f32_e32 v106, 0x3f52af12, v107
	v_add_f32_e32 v115, v190, v119
	v_add_f32_e32 v119, v192, v123
	v_dual_fmac_f32 v148, 0x3eedf032, v107 :: v_dual_add_f32 v85, v194, v85
	v_fmamk_f32 v107, v109, 0xbf3f9e67, v153
	v_fmamk_f32 v193, v103, 0x3f29c268, v102
	v_add_f32_e32 v33, v33, v47
	v_dual_fmamk_f32 v189, v103, 0xbeedf032, v140 :: v_dual_add_f32 v90, v177, v165
	v_fmac_f32_e32 v140, 0x3eedf032, v103
	v_dual_fmac_f32 v102, 0xbf29c268, v103 :: v_dual_add_f32 v117, v141, v121
	v_fmamk_f32 v103, v105, 0xbeb58ec6, v143
	v_fma_f32 v143, 0xbeb58ec6, v105, -v143
	v_dual_fmamk_f32 v205, v111, 0xbf7e222b, v156 :: v_dual_add_f32 v50, v133, v50
	v_dual_fmamk_f32 v213, v111, 0x3f6f5d39, v110 :: v_dual_add_f32 v96, v138, v96
	v_add_f32_e32 v118, v130, v120
	v_dual_add_f32 v124, v183, v171 :: v_dual_add_f32 v33, v33, v41
	v_dual_fmamk_f32 v207, v111, 0x3f52af12, v158 :: v_dual_add_f32 v86, v185, v86
	v_fmac_f32_e32 v158, 0xbf52af12, v111
	s_delay_alu instid0(VALU_DEP_3)
	v_dual_add_f32 v100, v140, v118 :: v_dual_add_f32 v39, v33, v43
	v_dual_add_f32 v50, v143, v50 :: v_dual_sub_f32 v43, v34, v36
	v_add_f32_e32 v32, v32, v36
	v_dual_add_f32 v96, v148, v96 :: v_dual_mul_f32 v47, 0xbf29c268, v114
	v_fma_f32 v147, 0x3f62ad3f, v105, -v147
	v_dual_fmamk_f32 v198, v105, 0x3df6dbef, v149 :: v_dual_add_f32 v51, v144, v51
	s_delay_alu instid0(VALU_DEP_3) | instskip(SKIP_2) | instid1(VALU_DEP_4)
	v_add_f32_e32 v96, v158, v96
	v_add_f32_e32 v32, v32, v38
	v_fma_f32 v149, 0x3df6dbef, v105, -v149
	v_dual_fmamk_f32 v202, v105, 0x3f116cb1, v108 :: v_dual_add_f32 v97, v198, v97
	v_fma_f32 v105, 0x3f116cb1, v105, -v108
	s_delay_alu instid0(VALU_DEP_4) | instskip(SKIP_3) | instid1(VALU_DEP_4)
	v_add_f32_e32 v32, v32, v44
	v_dual_fmamk_f32 v108, v111, 0x3f29c268, v154 :: v_dual_add_f32 v83, v101, v83
	v_dual_add_f32 v89, v196, v89 :: v_dual_fmamk_f32 v204, v109, 0x3df6dbef, v155
	v_add_f32_e32 v101, v200, v115
	v_add_f32_e32 v32, v32, v46
	v_fma_f32 v155, 0x3df6dbef, v109, -v155
	v_dual_fmac_f32 v154, 0xbf29c268, v111 :: v_dual_add_f32 v49, v108, v49
	v_fmac_f32_e32 v160, 0x3e750f2a, v111
	s_delay_alu instid0(VALU_DEP_4) | instskip(NEXT) | instid1(VALU_DEP_3)
	v_add_f32_e32 v32, v32, v40
	v_dual_fmamk_f32 v208, v109, 0xbf788fa5, v159 :: v_dual_add_f32 v51, v154, v51
	v_fma_f32 v159, 0xbf788fa5, v109, -v159
	v_dual_fmamk_f32 v210, v109, 0x3f62ad3f, v161 :: v_dual_add_f32 v87, v155, v87
	v_add_f32_e32 v116, v179, v167
	v_add_f32_e32 v120, v181, v169
	v_dual_add_f32 v99, v149, v99 :: v_dual_add_f32 v38, v32, v42
	v_add_f32_e32 v42, v37, v35
	v_add_f32_e32 v48, v103, v48
	v_dual_fmamk_f32 v206, v109, 0x3f116cb1, v157 :: v_dual_add_f32 v115, v202, v119
	v_fma_f32 v161, 0x3f62ad3f, v109, -v161
	v_fmamk_f32 v212, v109, 0xbeb58ec6, v112
	v_dual_add_f32 v122, v132, v122 :: v_dual_add_f32 v103, v151, v117
	v_dual_add_f32 v90, v187, v90 :: v_dual_add_f32 v83, v105, v83
	;; [unrolled: 1-line block ×4, first 2 shown]
	v_dual_add_f32 v116, v191, v120 :: v_dual_fmamk_f32 v33, v113, 0xbf788fa5, v163
	v_dual_add_f32 v120, v193, v124 :: v_dual_mul_f32 v35, 0xbf788fa5, v42
	v_fma_f32 v32, 0xbeb58ec6, v109, -v112
	v_dual_mul_f32 v37, 0x3f62ad3f, v42 :: v_dual_add_f32 v48, v107, v48
	v_add_f32_e32 v118, v142, v122
	v_dual_add_f32 v84, v102, v84 :: v_dual_add_f32 v101, v161, v103
	s_delay_alu instid0(VALU_DEP_3)
	v_dual_add_f32 v90, v197, v90 :: v_dual_fmamk_f32 v41, v43, 0xbeedf032, v37
	v_dual_add_f32 v103, v212, v115 :: v_dual_add_f32 v98, v199, v98
	v_fmac_f32_e32 v37, 0x3eedf032, v43
	v_dual_add_f32 v105, v32, v83 :: v_dual_add_f32 v32, v33, v48
	v_fmamk_f32 v33, v43, 0x3e750f2a, v35
	v_add_f32_e32 v86, v195, v86
	v_mul_f32_e32 v36, 0x3eedf032, v114
	v_dual_fmac_f32 v156, 0x3f7e222b, v111 :: v_dual_add_f32 v85, v204, v85
	v_add_f32_e32 v45, v209, v98
	v_dual_fmamk_f32 v211, v111, 0xbeedf032, v162 :: v_dual_add_f32 v94, v137, v94
	v_add_f32_e32 v90, v207, v90
	v_add_f32_e32 v84, v106, v84
	v_dual_fmac_f32 v110, 0xbf6f5d39, v111 :: v_dual_add_f32 v33, v33, v49
	v_add_f32_e32 v86, v205, v86
	v_fmamk_f32 v40, v113, 0x3f62ad3f, v36
	v_dual_fmac_f32 v162, 0x3eedf032, v111 :: v_dual_add_f32 v89, v206, v89
	v_add_f32_e32 v94, v147, v94
	v_add_f32_e32 v100, v150, v100
	s_delay_alu instid0(VALU_DEP_4)
	v_dual_add_f32 v106, v110, v84 :: v_dual_add_f32 v83, v40, v85
	v_add_f32_e32 v84, v41, v86
	v_dual_mul_f32 v41, 0xbf3f9e67, v42 :: v_dual_fmamk_f32 v40, v113, 0xbf3f9e67, v47
	v_fma_f32 v153, 0xbf3f9e67, v109, -v153
	v_dual_add_f32 v102, v201, v116 :: v_dual_fmac_f32 v35, 0xbe750f2a, v43
	v_mul_f32_e32 v48, 0x3f52af12, v114
	s_delay_alu instid0(VALU_DEP_4)
	v_add_f32_e32 v46, v40, v89
	v_fmamk_f32 v40, v43, 0x3f29c268, v41
	v_fmac_f32_e32 v41, 0xbf29c268, v43
	v_mul_f32_e32 v86, 0x3f116cb1, v42
	v_dual_add_f32 v88, v146, v88 :: v_dual_add_f32 v35, v35, v51
	v_dual_add_f32 v116, v203, v120 :: v_dual_fmamk_f32 v85, v113, 0x3f116cb1, v48
	v_add_f32_e32 v50, v153, v50
	v_mul_f32_e32 v89, 0x3df6dbef, v42
	v_add_f32_e32 v51, v41, v96
	v_fmamk_f32 v41, v43, 0xbf52af12, v86
	v_fma_f32 v157, 0x3f116cb1, v109, -v157
	v_add_f32_e32 v88, v156, v88
	v_add_f32_e32 v98, v160, v100
	v_fma_f32 v49, 0xbf3f9e67, v113, -v47
	v_dual_fmac_f32 v86, 0x3f52af12, v43 :: v_dual_add_f32 v41, v41, v45
	v_dual_add_f32 v47, v40, v90 :: v_dual_fmamk_f32 v90, v43, 0xbf7e222b, v89
	v_dual_fmac_f32 v89, 0x3f7e222b, v43 :: v_dual_add_f32 v40, v85, v44
	v_mul_f32_e32 v85, 0xbeb58ec6, v42
	v_dual_add_f32 v104, v152, v118 :: v_dual_add_f32 v37, v37, v88
	v_add_f32_e32 v100, v211, v102
	v_fma_f32 v34, 0xbf788fa5, v113, -v163
	s_delay_alu instid0(VALU_DEP_4)
	v_dual_add_f32 v45, v86, v98 :: v_dual_fmamk_f32 v86, v43, 0x3f6f5d39, v85
	v_add_f32_e32 v94, v157, v94
	v_mul_f32_e32 v88, 0x3f7e222b, v114
	v_add_f32_e32 v102, v162, v104
	v_add_f32_e32 v34, v34, v50
	v_fma_f32 v36, 0x3f62ad3f, v113, -v36
	v_add_f32_e32 v50, v49, v94
	v_mul_f32_e32 v49, 0xbf6f5d39, v114
	v_fmac_f32_e32 v85, 0xbf6f5d39, v43
	v_fma_f32 v94, 0x3df6dbef, v113, -v88
	v_add_f32_e32 v104, v213, v116
	v_add_f32_e32 v36, v36, v87
	v_fma_f32 v44, 0x3f116cb1, v113, -v48
	v_fmamk_f32 v48, v113, 0xbeb58ec6, v49
	v_fma_f32 v87, 0xbeb58ec6, v113, -v49
	v_add_f32_e32 v43, v85, v102
	v_add_f32_e32 v85, v94, v105
	v_dual_add_f32 v49, v86, v100 :: v_dual_fmamk_f32 v86, v113, 0x3df6dbef, v88
	v_add_f32_e32 v44, v44, v97
	v_add_f32_e32 v48, v48, v99
	v_add_f32_e32 v42, v87, v101
	v_add_f32_e32 v88, v90, v104
	v_dual_add_f32 v87, v86, v103 :: v_dual_add_f32 v86, v89, v106
	ds_store_2addr_b64 v95, v[38:39], v[32:33] offset1:1
	ds_store_2addr_b64 v95, v[83:84], v[46:47] offset0:2 offset1:3
	ds_store_2addr_b64 v95, v[40:41], v[48:49] offset0:4 offset1:5
	;; [unrolled: 1-line block ×5, first 2 shown]
	ds_store_b64 v95, v[34:35] offset:96
	global_wb scope:SCOPE_SE
	s_wait_dscnt 0x0
	s_barrier_signal -1
	s_barrier_wait -1
	global_inv scope:SCOPE_SE
	s_and_saveexec_b32 s0, vcc_lo
	s_cbranch_execz .LBB0_7
; %bb.6:
	ds_load_2addr_b64 v[32:35], v92 offset0:143 offset1:156
	ds_load_2addr_b64 v[40:43], v92 offset0:117 offset1:130
	;; [unrolled: 1-line block ×7, first 2 shown]
	ds_load_b64 v[38:39], v93
	ds_load_b64 v[81:82], v92 offset:1560
	s_wait_dscnt 0x8
	v_dual_mov_b32 v36, v32 :: v_dual_mov_b32 v37, v33
	s_wait_dscnt 0x7
	v_dual_mov_b32 v50, v42 :: v_dual_mov_b32 v51, v43
	v_dual_mov_b32 v44, v40 :: v_dual_mov_b32 v45, v41
	s_wait_dscnt 0x6
	v_dual_mov_b32 v42, v48 :: v_dual_mov_b32 v43, v49
	;; [unrolled: 3-line block ×5, first 2 shown]
	v_dual_mov_b32 v32, v102 :: v_dual_mov_b32 v33, v103
.LBB0_7:
	s_wait_alu 0xfffe
	s_or_b32 exec_lo, exec_lo, s0
	s_and_saveexec_b32 s0, vcc_lo
	s_cbranch_execz .LBB0_9
; %bb.8:
	v_mul_f32_e32 v98, v19, v35
	v_mul_f32_e32 v89, v11, v83
	;; [unrolled: 1-line block ×4, first 2 shown]
	s_delay_alu instid0(VALU_DEP_4) | instskip(NEXT) | instid1(VALU_DEP_4)
	v_dual_mul_f32 v97, v7, v41 :: v_dual_fmac_f32 v98, v18, v34
	v_fma_f32 v89, v10, v84, -v89
	s_wait_dscnt 0x2
	v_mul_f32_e32 v95, v27, v31
	v_mul_f32_e32 v94, v15, v88
	v_dual_mul_f32 v96, v3, v42 :: v_dual_fmac_f32 v97, v6, v40
	v_mul_f32_e32 v15, v15, v87
	s_delay_alu instid0(VALU_DEP_4) | instskip(NEXT) | instid1(VALU_DEP_4)
	v_fmac_f32_e32 v95, v26, v30
	v_fmac_f32_e32 v94, v14, v87
	v_mul_f32_e32 v90, v23, v50
	v_mul_f32_e32 v27, v27, v30
	v_fma_f32 v96, v2, v43, -v96
	v_fmac_f32_e32 v11, v10, v83
	v_sub_f32_e32 v95, v94, v95
	v_fma_f32 v90, v22, v51, -v90
	v_sub_f32_e32 v84, v97, v98
	v_fma_f32 v14, v14, v88, -v15
	v_fma_f32 v15, v26, v31, -v27
	v_dual_mul_f32 v10, v23, v51 :: v_dual_mul_f32 v27, v1, v86
	v_sub_f32_e32 v90, v89, v90
	v_mul_f32_e32 v23, v5, v46
	v_mul_f32_e32 v26, v17, v36
	s_wait_dscnt 0x0
	v_dual_sub_f32 v30, v39, v96 :: v_dual_mul_f32 v31, v80, v82
	v_sub_f32_e32 v99, v90, v95
	v_fmac_f32_e32 v10, v22, v50
	v_fma_f32 v22, v4, v47, -v23
	v_fma_f32 v23, v16, v37, -v26
	v_dual_sub_f32 v15, v14, v15 :: v_dual_mul_f32 v80, v80, v81
	v_mul_f32_e32 v1, v1, v85
	v_mul_f32_e32 v5, v5, v47
	;; [unrolled: 1-line block ×3, first 2 shown]
	v_sub_f32_e32 v26, v30, v84
	v_dual_sub_f32 v23, v22, v23 :: v_dual_mul_f32 v50, v9, v32
	v_dual_fmac_f32 v27, v0, v85 :: v_dual_sub_f32 v10, v11, v10
	v_fma_f32 v0, v0, v86, -v1
	v_fma_f32 v1, v79, v82, -v80
	v_mul_f32_e32 v9, v9, v33
	v_mul_f32_e32 v3, v3, v43
	v_fma_f32 v6, v6, v41, -v7
	v_fma_f32 v7, v18, v35, -v19
	v_dual_fmac_f32 v5, v4, v46 :: v_dual_mul_f32 v4, v17, v37
	v_fmac_f32_e32 v31, v79, v81
	v_fma_f32 v50, v8, v33, -v50
	v_fmac_f32_e32 v9, v8, v32
	v_sub_f32_e32 v8, v0, v1
	s_delay_alu instid0(VALU_DEP_4)
	v_dual_fmac_f32 v4, v16, v36 :: v_dual_sub_f32 v31, v27, v31
	v_mul_f32_e32 v51, v21, v44
	v_fmac_f32_e32 v3, v2, v42
	v_sub_f32_e32 v2, v6, v7
	v_fma_f32 v19, v39, 2.0, -v30
	v_sub_f32_e32 v88, v23, v31
	v_fma_f32 v51, v20, v45, -v51
	v_sub_f32_e32 v7, v38, v3
	v_fma_f32 v30, v30, 2.0, -v26
	v_mul_f32_e32 v21, v21, v45
	s_delay_alu instid0(VALU_DEP_4) | instskip(SKIP_2) | instid1(VALU_DEP_4)
	v_dual_sub_f32 v4, v5, v4 :: v_dual_sub_f32 v47, v50, v51
	v_mul_f32_e32 v83, v13, v49
	v_dual_mul_f32 v13, v13, v48 :: v_dual_add_f32 v18, v2, v7
	v_fmac_f32_e32 v21, v20, v44
	v_fma_f32 v2, v6, 2.0, -v2
	v_mul_f32_e32 v17, v25, v28
	v_fma_f32 v22, v22, 2.0, -v23
	v_fma_f32 v0, v0, 2.0, -v8
	v_dual_mul_f32 v87, v25, v29 :: v_dual_fmamk_f32 v20, v99, 0x3f3504f3, v26
	v_fmac_f32_e32 v83, v12, v48
	v_fma_f32 v12, v12, v49, -v13
	v_dual_add_f32 v25, v8, v4 :: v_dual_sub_f32 v2, v19, v2
	v_fma_f32 v13, v24, v29, -v17
	v_sub_f32_e32 v39, v22, v0
	v_fma_f32 v41, v89, 2.0, -v90
	v_fma_f32 v0, v14, 2.0, -v15
	;; [unrolled: 1-line block ×3, first 2 shown]
	v_sub_f32_e32 v17, v9, v21
	v_add_f32_e32 v21, v15, v10
	v_fmac_f32_e32 v87, v24, v28
	v_sub_f32_e32 v15, v41, v0
	v_fma_f32 v32, v11, 2.0, -v10
	v_fma_f32 v6, v94, 2.0, -v95
	;; [unrolled: 1-line block ×3, first 2 shown]
	v_sub_f32_e32 v13, v12, v13
	v_fmac_f32_e32 v20, 0xbf3504f3, v21
	v_fma_f32 v33, v50, 2.0, -v47
	v_fmamk_f32 v34, v21, 0x3f3504f3, v18
	v_fma_f32 v45, v7, 2.0, -v18
	v_dual_add_f32 v28, v13, v17 :: v_dual_sub_f32 v51, v83, v87
	v_fma_f32 v11, v12, 2.0, -v13
	v_fma_f32 v12, v5, 2.0, -v4
	;; [unrolled: 1-line block ×3, first 2 shown]
	s_delay_alu instid0(VALU_DEP_4) | instskip(SKIP_2) | instid1(VALU_DEP_4)
	v_dual_sub_f32 v13, v32, v6 :: v_dual_sub_f32 v16, v47, v51
	v_fma_f32 v6, v90, 2.0, -v99
	v_dual_fmamk_f32 v46, v0, 0xbf3504f3, v45 :: v_dual_sub_f32 v27, v33, v11
	v_sub_f32_e32 v31, v12, v5
	v_fma_f32 v14, v38, 2.0, -v7
	v_fma_f32 v38, v47, 2.0, -v16
	;; [unrolled: 1-line block ×3, first 2 shown]
	v_fmamk_f32 v29, v25, 0x3f3504f3, v28
	v_fmac_f32_e32 v34, 0x3f3504f3, v99
	v_fmamk_f32 v42, v6, 0xbf3504f3, v30
	v_dual_fmac_f32 v46, 0x3f3504f3, v6 :: v_dual_sub_f32 v37, v27, v31
	s_delay_alu instid0(VALU_DEP_4)
	v_fmac_f32_e32 v29, 0x3f3504f3, v88
	v_fmamk_f32 v10, v8, 0xbf3504f3, v38
	v_fma_f32 v43, v17, 2.0, -v28
	v_fmac_f32_e32 v42, 0xbf3504f3, v0
	v_fma_f32 v5, v83, 2.0, -v51
	v_fmamk_f32 v0, v29, 0x3f6c835e, v34
	v_fma_f32 v4, v4, 2.0, -v25
	v_sub_f32_e32 v36, v2, v13
	v_fma_f32 v35, v9, 2.0, -v17
	v_fmamk_f32 v24, v88, 0x3f3504f3, v16
	v_fma_f32 v13, v32, 2.0, -v13
	v_fmamk_f32 v44, v4, 0xbf3504f3, v43
	v_fmac_f32_e32 v10, 0xbf3504f3, v4
	v_sub_f32_e32 v40, v35, v5
	v_fma_f32 v5, v97, 2.0, -v84
	v_fmac_f32_e32 v24, 0xbf3504f3, v25
	v_fmac_f32_e32 v44, 0x3f3504f3, v8
	v_fmamk_f32 v7, v10, 0x3ec3ef15, v42
	v_add_f32_e32 v21, v39, v40
	v_sub_f32_e32 v23, v14, v5
	v_fma_f32 v32, v33, 2.0, -v27
	v_fmamk_f32 v6, v44, 0x3ec3ef15, v46
	v_fmamk_f32 v5, v37, 0x3f3504f3, v36
	v_fma_f32 v35, v35, 2.0, -v40
	v_fma_f32 v2, v2, 2.0, -v36
	v_fma_f32 v16, v16, 2.0, -v24
	v_fmac_f32_e32 v6, 0x3f6c835e, v10
	v_fma_f32 v12, v12, 2.0, -v31
	v_fma_f32 v31, v14, 2.0, -v23
	;; [unrolled: 1-line block ×4, first 2 shown]
	v_add_f32_e32 v25, v15, v23
	v_fmac_f32_e32 v5, 0xbf3504f3, v21
	v_fma_f32 v15, v41, 2.0, -v15
	v_sub_f32_e32 v39, v31, v13
	v_sub_f32_e32 v41, v32, v14
	v_fmamk_f32 v1, v24, 0x3f6c835e, v20
	v_fmamk_f32 v4, v21, 0x3f3504f3, v25
	v_fma_f32 v9, v36, 2.0, -v5
	v_sub_f32_e32 v33, v35, v12
	v_add_f32_e32 v12, v39, v41
	v_fma_f32 v36, v18, 2.0, -v34
	v_fmac_f32_e32 v4, 0x3f3504f3, v37
	v_fma_f32 v14, v28, 2.0, -v29
	v_fmac_f32_e32 v1, 0xbec3ef15, v29
	v_fmac_f32_e32 v0, 0x3ec3ef15, v24
	v_sub_f32_e32 v22, v47, v15
	v_fma_f32 v24, v40, 2.0, -v21
	v_fma_f32 v28, v23, 2.0, -v25
	;; [unrolled: 1-line block ×5, first 2 shown]
	v_sub_f32_e32 v13, v22, v33
	v_fma_f32 v29, v30, 2.0, -v42
	v_fma_f32 v30, v47, 2.0, -v22
	v_fmamk_f32 v15, v16, 0xbec3ef15, v20
	v_fmamk_f32 v17, v26, 0xbf3504f3, v2
	v_fma_f32 v19, v22, 2.0, -v13
	v_fma_f32 v22, v32, 2.0, -v41
	;; [unrolled: 1-line block ×3, first 2 shown]
	v_fmac_f32_e32 v15, 0xbf6c835e, v14
	v_fmamk_f32 v14, v14, 0xbec3ef15, v36
	v_fmac_f32_e32 v17, 0xbf3504f3, v24
	v_fma_f32 v31, v35, 2.0, -v33
	v_sub_f32_e32 v27, v30, v22
	v_fma_f32 v21, v20, 2.0, -v15
	v_fma_f32 v20, v45, 2.0, -v46
	;; [unrolled: 1-line block ×4, first 2 shown]
	v_fmac_f32_e32 v14, 0x3f6c835e, v16
	v_fmamk_f32 v16, v24, 0xbf3504f3, v28
	v_fmac_f32_e32 v7, 0xbf6c835e, v44
	v_fma_f32 v18, v39, 2.0, -v12
	v_fmamk_f32 v24, v2, 0xbf6c835e, v20
	s_delay_alu instid0(VALU_DEP_4) | instskip(SKIP_2) | instid1(VALU_DEP_4)
	v_fmac_f32_e32 v16, 0x3f3504f3, v26
	v_sub_f32_e32 v26, v32, v31
	v_fma_f32 v31, v30, 2.0, -v27
	v_fmac_f32_e32 v24, 0x3ec3ef15, v10
	v_fma_f32 v8, v25, 2.0, -v4
	v_fmamk_f32 v25, v10, 0xbf6c835e, v29
	v_fma_f32 v30, v32, 2.0, -v26
	v_fma_f32 v22, v28, 2.0, -v16
	;; [unrolled: 1-line block ×4, first 2 shown]
	v_fmac_f32_e32 v25, 0xbec3ef15, v2
	v_fma_f32 v11, v42, 2.0, -v7
	v_fma_f32 v10, v46, 2.0, -v6
	v_fma_f32 v2, v34, 2.0, -v0
	s_delay_alu instid0(VALU_DEP_4)
	v_fma_f32 v29, v29, 2.0, -v25
	ds_store_b64 v93, v[30:31]
	ds_store_2addr_b64 v92, v[28:29], v[22:23] offset0:13 offset1:26
	ds_store_2addr_b64 v92, v[20:21], v[18:19] offset0:39 offset1:52
	;; [unrolled: 1-line block ×7, first 2 shown]
	ds_store_b64 v92, v[0:1] offset:1560
.LBB0_9:
	s_wait_alu 0xfffe
	s_or_b32 exec_lo, exec_lo, s0
	global_wb scope:SCOPE_SE
	s_wait_dscnt 0x0
	s_barrier_signal -1
	s_barrier_wait -1
	global_inv scope:SCOPE_SE
	ds_load_b64 v[24:25], v93
	ds_load_2addr_b64 v[0:3], v92 offset0:16 offset1:32
	ds_load_2addr_b64 v[4:7], v92 offset0:48 offset1:64
	;; [unrolled: 1-line block ×6, first 2 shown]
	v_mad_co_u64_u32 v[28:29], null, s4, v91, 0
	v_mad_co_u64_u32 v[26:27], null, s6, v52, 0
	s_mov_b32 s0, 0x13b13b14
	s_mov_b32 s1, 0x3f73b13b
	s_delay_alu instid0(VALU_DEP_1)
	v_mad_co_u64_u32 v[36:37], null, s7, v52, v[27:28]
	s_wait_dscnt 0x3
	v_dual_mul_f32 v38, v56, v5 :: v_dual_mul_f32 v43, v62, v8
	v_dual_mul_f32 v30, v58, v25 :: v_dual_mul_f32 v33, v64, v0
	;; [unrolled: 1-line block ×3, first 2 shown]
	v_mul_f32_e32 v39, v56, v4
	s_delay_alu instid0(VALU_DEP_3) | instskip(NEXT) | instid1(VALU_DEP_4)
	v_dual_fmac_f32 v30, v57, v24 :: v_dual_mul_f32 v37, v54, v3
	v_fma_f32 v1, v63, v1, -v33
	s_delay_alu instid0(VALU_DEP_4)
	v_fmac_f32_e32 v32, v63, v0
	v_mov_b32_e32 v0, v29
	v_fma_f32 v31, v57, v25, -v31
	v_cvt_f64_f32_e32 v[24:25], v30
	v_cvt_f64_f32_e32 v[34:35], v1
	v_dual_mul_f32 v40, v60, v7 :: v_dual_mul_f32 v45, v66, v10
	v_mad_co_u64_u32 v[0:1], null, s5, v91, v[0:1]
	v_cvt_f64_f32_e32 v[30:31], v31
	v_mul_f32_e32 v1, v54, v2
	v_cvt_f64_f32_e32 v[32:33], v32
	v_dual_mul_f32 v41, v60, v6 :: v_dual_mul_f32 v42, v62, v9
	s_wait_dscnt 0x1
	v_dual_mul_f32 v52, v74, v19 :: v_dual_mov_b32 v27, v36
	v_dual_mul_f32 v54, v74, v18 :: v_dual_mov_b32 v29, v0
	s_wait_dscnt 0x0
	v_dual_mul_f32 v56, v78, v21 :: v_dual_fmac_f32 v37, v53, v2
	v_fma_f32 v36, v53, v3, -v1
	v_fmac_f32_e32 v38, v55, v4
	v_fma_f32 v39, v55, v5, -v39
	v_fmac_f32_e32 v40, v59, v6
	v_fma_f32 v41, v59, v7, -v41
	v_dual_mul_f32 v44, v66, v11 :: v_dual_mul_f32 v47, v68, v12
	v_fmac_f32_e32 v42, v61, v8
	v_dual_mul_f32 v46, v68, v13 :: v_dual_mul_f32 v49, v70, v14
	s_delay_alu instid0(VALU_DEP_3) | instskip(SKIP_2) | instid1(VALU_DEP_4)
	v_fmac_f32_e32 v44, v65, v10
	v_dual_mul_f32 v48, v70, v15 :: v_dual_mul_f32 v51, v72, v16
	v_dual_mul_f32 v50, v72, v17 :: v_dual_mul_f32 v57, v78, v20
	v_fmac_f32_e32 v46, v67, v12
	v_mul_f32_e32 v58, v76, v23
	v_mul_f32_e32 v60, v76, v22
	v_fmac_f32_e32 v48, v69, v14
	v_fmac_f32_e32 v50, v71, v16
	;; [unrolled: 1-line block ×3, first 2 shown]
	s_wait_alu 0xfffe
	v_mul_f64_e32 v[0:1], s[0:1], v[24:25]
	v_mul_f64_e32 v[6:7], s[0:1], v[34:35]
	v_fma_f32 v34, v67, v13, -v47
	v_cvt_f64_f32_e32 v[12:13], v38
	v_cvt_f64_f32_e32 v[24:25], v39
	v_fma_f32 v38, v69, v15, -v49
	v_mul_f64_e32 v[2:3], s[0:1], v[30:31]
	v_fma_f32 v30, v61, v9, -v43
	v_mul_f64_e32 v[4:5], s[0:1], v[32:33]
	v_fma_f32 v32, v65, v11, -v45
	v_cvt_f64_f32_e32 v[8:9], v37
	v_cvt_f64_f32_e32 v[10:11], v36
	v_fma_f32 v43, v71, v17, -v51
	v_cvt_f64_f32_e32 v[14:15], v40
	v_cvt_f64_f32_e32 v[16:17], v41
	v_fma_f32 v47, v73, v19, -v54
	v_fmac_f32_e32 v56, v77, v20
	v_fma_f32 v49, v77, v21, -v57
	v_cvt_f64_f32_e32 v[18:19], v42
	v_cvt_f64_f32_e32 v[20:21], v30
	;; [unrolled: 1-line block ×4, first 2 shown]
	v_fmac_f32_e32 v58, v75, v22
	v_fma_f32 v51, v75, v23, -v60
	v_lshlrev_b64_e32 v[22:23], 3, v[26:27]
	v_cvt_f64_f32_e32 v[26:27], v46
	v_cvt_f64_f32_e32 v[34:35], v34
	;; [unrolled: 1-line block ×8, first 2 shown]
	v_lshlrev_b64_e32 v[28:29], 3, v[28:29]
	v_add_co_u32 v22, vcc_lo, s2, v22
	s_wait_alu 0xfffd
	v_add_co_ci_u32_e32 v23, vcc_lo, s3, v23, vcc_lo
	v_cvt_f32_f64_e32 v0, v[0:1]
	s_delay_alu instid0(VALU_DEP_3)
	v_add_co_u32 v22, vcc_lo, v22, v28
	v_mul_f64_e32 v[12:13], s[0:1], v[12:13]
	v_mul_f64_e32 v[24:25], s[0:1], v[24:25]
	s_wait_alu 0xfffd
	v_add_co_ci_u32_e32 v23, vcc_lo, v23, v29, vcc_lo
	v_cvt_f32_f64_e32 v1, v[2:3]
	v_cvt_f32_f64_e32 v2, v[4:5]
	v_cvt_f64_f32_e32 v[4:5], v47
	v_cvt_f32_f64_e32 v3, v[6:7]
	v_cvt_f64_f32_e32 v[6:7], v56
	v_cvt_f64_f32_e32 v[46:47], v49
	;; [unrolled: 1-line block ×3, first 2 shown]
	v_mul_f64_e32 v[8:9], s[0:1], v[8:9]
	v_mul_f64_e32 v[10:11], s[0:1], v[10:11]
	;; [unrolled: 1-line block ×8, first 2 shown]
	s_lshl_b64 s[4:5], s[4:5], 7
	s_wait_alu 0xfffe
	v_add_co_u32 v32, vcc_lo, v22, s4
	v_mul_f64_e32 v[26:27], s[0:1], v[26:27]
	v_mul_f64_e32 v[34:35], s[0:1], v[34:35]
	s_wait_alu 0xfffd
	v_add_co_ci_u32_e32 v33, vcc_lo, s5, v23, vcc_lo
	v_mul_f64_e32 v[36:37], s[0:1], v[36:37]
	v_mul_f64_e32 v[38:39], s[0:1], v[38:39]
	;; [unrolled: 1-line block ×5, first 2 shown]
	s_clause 0x1
	global_store_b64 v[22:23], v[0:1], off
	global_store_b64 v[32:33], v[2:3], off
	v_mul_f64_e32 v[0:1], s[0:1], v[4:5]
	v_mul_f64_e32 v[2:3], s[0:1], v[6:7]
	;; [unrolled: 1-line block ×5, first 2 shown]
	v_cvt_f32_f64_e32 v8, v[8:9]
	v_cvt_f32_f64_e32 v9, v[10:11]
	v_add_co_u32 v10, vcc_lo, v32, s4
	s_wait_alu 0xfffd
	v_add_co_ci_u32_e32 v11, vcc_lo, s5, v33, vcc_lo
	v_cvt_f32_f64_e32 v12, v[12:13]
	v_cvt_f32_f64_e32 v13, v[24:25]
	v_add_co_u32 v24, vcc_lo, v10, s4
	s_wait_alu 0xfffd
	v_add_co_ci_u32_e32 v25, vcc_lo, s5, v11, vcc_lo
	v_cvt_f32_f64_e32 v14, v[14:15]
	v_cvt_f32_f64_e32 v15, v[16:17]
	;; [unrolled: 1-line block ×6, first 2 shown]
	v_add_co_u32 v16, vcc_lo, v24, s4
	s_wait_alu 0xfffd
	v_add_co_ci_u32_e32 v17, vcc_lo, s5, v25, vcc_lo
	v_cvt_f32_f64_e32 v26, v[26:27]
	v_cvt_f32_f64_e32 v27, v[34:35]
	v_add_co_u32 v28, vcc_lo, v16, s4
	v_cvt_f32_f64_e32 v30, v[36:37]
	v_cvt_f32_f64_e32 v31, v[38:39]
	;; [unrolled: 1-line block ×4, first 2 shown]
	s_wait_alu 0xfffd
	v_add_co_ci_u32_e32 v29, vcc_lo, s5, v17, vcc_lo
	v_cvt_f32_f64_e32 v34, v[44:45]
	v_cvt_f32_f64_e32 v35, v[0:1]
	;; [unrolled: 1-line block ×6, first 2 shown]
	v_add_co_u32 v4, vcc_lo, v28, s4
	s_wait_alu 0xfffd
	v_add_co_ci_u32_e32 v5, vcc_lo, s5, v29, vcc_lo
	global_store_b64 v[10:11], v[8:9], off
	v_add_co_u32 v6, vcc_lo, v4, s4
	s_wait_alu 0xfffd
	v_add_co_ci_u32_e32 v7, vcc_lo, s5, v5, vcc_lo
	global_store_b64 v[24:25], v[12:13], off
	;; [unrolled: 4-line block ×7, first 2 shown]
	global_store_b64 v[10:11], v[32:33], off
	global_store_b64 v[12:13], v[34:35], off
	;; [unrolled: 1-line block ×4, first 2 shown]
.LBB0_10:
	s_nop 0
	s_sendmsg sendmsg(MSG_DEALLOC_VGPRS)
	s_endpgm
	.section	.rodata,"a",@progbits
	.p2align	6, 0x0
	.amdhsa_kernel bluestein_single_fwd_len208_dim1_sp_op_CI_CI
		.amdhsa_group_segment_fixed_size 6656
		.amdhsa_private_segment_fixed_size 0
		.amdhsa_kernarg_size 104
		.amdhsa_user_sgpr_count 2
		.amdhsa_user_sgpr_dispatch_ptr 0
		.amdhsa_user_sgpr_queue_ptr 0
		.amdhsa_user_sgpr_kernarg_segment_ptr 1
		.amdhsa_user_sgpr_dispatch_id 0
		.amdhsa_user_sgpr_private_segment_size 0
		.amdhsa_wavefront_size32 1
		.amdhsa_uses_dynamic_stack 0
		.amdhsa_enable_private_segment 0
		.amdhsa_system_sgpr_workgroup_id_x 1
		.amdhsa_system_sgpr_workgroup_id_y 0
		.amdhsa_system_sgpr_workgroup_id_z 0
		.amdhsa_system_sgpr_workgroup_info 0
		.amdhsa_system_vgpr_workitem_id 0
		.amdhsa_next_free_vgpr 214
		.amdhsa_next_free_sgpr 20
		.amdhsa_reserve_vcc 1
		.amdhsa_float_round_mode_32 0
		.amdhsa_float_round_mode_16_64 0
		.amdhsa_float_denorm_mode_32 3
		.amdhsa_float_denorm_mode_16_64 3
		.amdhsa_fp16_overflow 0
		.amdhsa_workgroup_processor_mode 1
		.amdhsa_memory_ordered 1
		.amdhsa_forward_progress 0
		.amdhsa_round_robin_scheduling 0
		.amdhsa_exception_fp_ieee_invalid_op 0
		.amdhsa_exception_fp_denorm_src 0
		.amdhsa_exception_fp_ieee_div_zero 0
		.amdhsa_exception_fp_ieee_overflow 0
		.amdhsa_exception_fp_ieee_underflow 0
		.amdhsa_exception_fp_ieee_inexact 0
		.amdhsa_exception_int_div_zero 0
	.end_amdhsa_kernel
	.text
.Lfunc_end0:
	.size	bluestein_single_fwd_len208_dim1_sp_op_CI_CI, .Lfunc_end0-bluestein_single_fwd_len208_dim1_sp_op_CI_CI
                                        ; -- End function
	.section	.AMDGPU.csdata,"",@progbits
; Kernel info:
; codeLenInByte = 12272
; NumSgprs: 22
; NumVgprs: 214
; ScratchSize: 0
; MemoryBound: 0
; FloatMode: 240
; IeeeMode: 1
; LDSByteSize: 6656 bytes/workgroup (compile time only)
; SGPRBlocks: 2
; VGPRBlocks: 26
; NumSGPRsForWavesPerEU: 22
; NumVGPRsForWavesPerEU: 214
; Occupancy: 7
; WaveLimiterHint : 1
; COMPUTE_PGM_RSRC2:SCRATCH_EN: 0
; COMPUTE_PGM_RSRC2:USER_SGPR: 2
; COMPUTE_PGM_RSRC2:TRAP_HANDLER: 0
; COMPUTE_PGM_RSRC2:TGID_X_EN: 1
; COMPUTE_PGM_RSRC2:TGID_Y_EN: 0
; COMPUTE_PGM_RSRC2:TGID_Z_EN: 0
; COMPUTE_PGM_RSRC2:TIDIG_COMP_CNT: 0
	.text
	.p2alignl 7, 3214868480
	.fill 96, 4, 3214868480
	.type	__hip_cuid_7bf81e9b0f723005,@object ; @__hip_cuid_7bf81e9b0f723005
	.section	.bss,"aw",@nobits
	.globl	__hip_cuid_7bf81e9b0f723005
__hip_cuid_7bf81e9b0f723005:
	.byte	0                               ; 0x0
	.size	__hip_cuid_7bf81e9b0f723005, 1

	.ident	"AMD clang version 19.0.0git (https://github.com/RadeonOpenCompute/llvm-project roc-6.4.0 25133 c7fe45cf4b819c5991fe208aaa96edf142730f1d)"
	.section	".note.GNU-stack","",@progbits
	.addrsig
	.addrsig_sym __hip_cuid_7bf81e9b0f723005
	.amdgpu_metadata
---
amdhsa.kernels:
  - .args:
      - .actual_access:  read_only
        .address_space:  global
        .offset:         0
        .size:           8
        .value_kind:     global_buffer
      - .actual_access:  read_only
        .address_space:  global
        .offset:         8
        .size:           8
        .value_kind:     global_buffer
      - .actual_access:  read_only
        .address_space:  global
        .offset:         16
        .size:           8
        .value_kind:     global_buffer
      - .actual_access:  read_only
        .address_space:  global
        .offset:         24
        .size:           8
        .value_kind:     global_buffer
      - .actual_access:  read_only
        .address_space:  global
        .offset:         32
        .size:           8
        .value_kind:     global_buffer
      - .offset:         40
        .size:           8
        .value_kind:     by_value
      - .address_space:  global
        .offset:         48
        .size:           8
        .value_kind:     global_buffer
      - .address_space:  global
        .offset:         56
        .size:           8
        .value_kind:     global_buffer
      - .address_space:  global
        .offset:         64
        .size:           8
        .value_kind:     global_buffer
      - .address_space:  global
        .offset:         72
        .size:           8
        .value_kind:     global_buffer
      - .offset:         80
        .size:           4
        .value_kind:     by_value
      - .address_space:  global
        .offset:         88
        .size:           8
        .value_kind:     global_buffer
      - .address_space:  global
        .offset:         96
        .size:           8
        .value_kind:     global_buffer
    .group_segment_fixed_size: 6656
    .kernarg_segment_align: 8
    .kernarg_segment_size: 104
    .language:       OpenCL C
    .language_version:
      - 2
      - 0
    .max_flat_workgroup_size: 64
    .name:           bluestein_single_fwd_len208_dim1_sp_op_CI_CI
    .private_segment_fixed_size: 0
    .sgpr_count:     22
    .sgpr_spill_count: 0
    .symbol:         bluestein_single_fwd_len208_dim1_sp_op_CI_CI.kd
    .uniform_work_group_size: 1
    .uses_dynamic_stack: false
    .vgpr_count:     214
    .vgpr_spill_count: 0
    .wavefront_size: 32
    .workgroup_processor_mode: 1
amdhsa.target:   amdgcn-amd-amdhsa--gfx1201
amdhsa.version:
  - 1
  - 2
...

	.end_amdgpu_metadata
